;; amdgpu-corpus repo=ROCm/rocFFT kind=compiled arch=gfx906 opt=O3
	.text
	.amdgcn_target "amdgcn-amd-amdhsa--gfx906"
	.amdhsa_code_object_version 6
	.protected	bluestein_single_fwd_len867_dim1_sp_op_CI_CI ; -- Begin function bluestein_single_fwd_len867_dim1_sp_op_CI_CI
	.globl	bluestein_single_fwd_len867_dim1_sp_op_CI_CI
	.p2align	8
	.type	bluestein_single_fwd_len867_dim1_sp_op_CI_CI,@function
bluestein_single_fwd_len867_dim1_sp_op_CI_CI: ; @bluestein_single_fwd_len867_dim1_sp_op_CI_CI
; %bb.0:
	s_load_dwordx4 s[8:11], s[4:5], 0x28
	v_mul_u32_u24_e32 v1, 0x506, v0
	v_add_u32_sdwa v102, s6, v1 dst_sel:DWORD dst_unused:UNUSED_PAD src0_sel:DWORD src1_sel:WORD_1
	v_mov_b32_e32 v103, 0
	s_waitcnt lgkmcnt(0)
	v_cmp_gt_u64_e32 vcc, s[8:9], v[102:103]
	s_and_saveexec_b64 s[0:1], vcc
	s_cbranch_execz .LBB0_10
; %bb.1:
	s_load_dwordx4 s[0:3], s[4:5], 0x18
	s_load_dwordx4 s[12:15], s[4:5], 0x0
	v_mov_b32_e32 v2, 51
	v_mul_lo_u16_sdwa v1, v1, v2 dst_sel:DWORD dst_unused:UNUSED_PAD src0_sel:WORD_1 src1_sel:DWORD
	v_sub_u16_e32 v128, v0, v1
	s_waitcnt lgkmcnt(0)
	s_load_dwordx4 s[16:19], s[0:1], 0x0
	v_lshlrev_b32_e32 v127, 3, v128
	s_movk_i32 s8, 0x1000
	v_add_u32_e32 v130, 0x800, v127
	v_add_u32_e32 v131, 0x1000, v127
	s_waitcnt lgkmcnt(0)
	v_mad_u64_u32 v[0:1], s[0:1], s18, v102, 0
	v_mad_u64_u32 v[2:3], s[0:1], s16, v128, 0
	s_mul_i32 s6, s17, 0x198
	s_mul_hi_u32 s7, s16, 0x198
	v_mad_u64_u32 v[4:5], s[0:1], s19, v102, v[1:2]
	s_add_i32 s6, s7, s6
	s_mul_i32 s7, s16, 0x198
	v_mad_u64_u32 v[5:6], s[0:1], s17, v128, v[3:4]
	v_mov_b32_e32 v1, v4
	v_lshlrev_b64 v[0:1], 3, v[0:1]
	v_mov_b32_e32 v6, s11
	v_mov_b32_e32 v3, v5
	v_add_co_u32_e32 v4, vcc, s10, v0
	v_addc_co_u32_e32 v5, vcc, v6, v1, vcc
	v_lshlrev_b64 v[0:1], 3, v[2:3]
	v_mov_b32_e32 v2, s13
	v_add_co_u32_e32 v0, vcc, v4, v0
	v_add_co_u32_e64 v129, s[0:1], s12, v127
	v_addc_co_u32_e32 v1, vcc, v5, v1, vcc
	v_addc_co_u32_e64 v27, vcc, 0, v2, s[0:1]
	v_mov_b32_e32 v3, s6
	v_add_co_u32_e32 v2, vcc, s7, v0
	v_addc_co_u32_e32 v3, vcc, v1, v3, vcc
	v_mov_b32_e32 v5, s6
	v_add_co_u32_e32 v4, vcc, s7, v2
	v_addc_co_u32_e32 v5, vcc, v3, v5, vcc
	;; [unrolled: 3-line block ×3, first 2 shown]
	global_load_dwordx2 v[8:9], v[0:1], off
	global_load_dwordx2 v[10:11], v[2:3], off
	;; [unrolled: 1-line block ×4, first 2 shown]
	global_load_dwordx2 v[117:118], v127, s[12:13]
	global_load_dwordx2 v[115:116], v127, s[12:13] offset:408
	global_load_dwordx2 v[111:112], v127, s[12:13] offset:816
	;; [unrolled: 1-line block ×3, first 2 shown]
	v_mov_b32_e32 v1, s6
	v_add_co_u32_e32 v0, vcc, s7, v6
	v_addc_co_u32_e32 v1, vcc, v7, v1, vcc
	global_load_dwordx2 v[2:3], v[0:1], off
	v_mov_b32_e32 v4, s6
	v_add_co_u32_e32 v0, vcc, s7, v0
	v_addc_co_u32_e32 v1, vcc, v1, v4, vcc
	global_load_dwordx2 v[4:5], v[0:1], off
	;; [unrolled: 4-line block ×4, first 2 shown]
	global_load_dwordx2 v[113:114], v127, s[12:13] offset:1632
	global_load_dwordx2 v[109:110], v127, s[12:13] offset:2040
	global_load_dwordx2 v[105:106], v127, s[12:13] offset:2448
	global_load_dwordx2 v[100:101], v127, s[12:13] offset:2856
	v_mov_b32_e32 v18, s6
	v_add_co_u32_e32 v0, vcc, s7, v0
	v_addc_co_u32_e32 v1, vcc, v1, v18, vcc
	global_load_dwordx2 v[18:19], v[0:1], off
	v_mov_b32_e32 v20, s6
	v_add_co_u32_e32 v0, vcc, s7, v0
	v_addc_co_u32_e32 v1, vcc, v1, v20, vcc
	global_load_dwordx2 v[20:21], v[0:1], off
	;; [unrolled: 4-line block ×3, first 2 shown]
	global_load_dwordx2 v[103:104], v127, s[12:13] offset:3264
	global_load_dwordx2 v[98:99], v127, s[12:13] offset:3672
	;; [unrolled: 1-line block ×3, first 2 shown]
	v_mov_b32_e32 v24, s6
	v_add_co_u32_e32 v0, vcc, s7, v0
	v_addc_co_u32_e32 v1, vcc, v1, v24, vcc
	v_add_co_u32_e32 v26, vcc, s8, v129
	v_addc_co_u32_e32 v27, vcc, 0, v27, vcc
	global_load_dwordx2 v[24:25], v[0:1], off
	v_mov_b32_e32 v28, s6
	v_add_co_u32_e32 v0, vcc, s7, v0
	v_addc_co_u32_e32 v1, vcc, v1, v28, vcc
	global_load_dwordx2 v[28:29], v[0:1], off
	global_load_dwordx2 v[96:97], v[26:27], off offset:392
	global_load_dwordx2 v[90:91], v[26:27], off offset:800
	v_mov_b32_e32 v30, s6
	v_add_co_u32_e32 v0, vcc, s7, v0
	v_addc_co_u32_e32 v1, vcc, v1, v30, vcc
	global_load_dwordx2 v[30:31], v[0:1], off
	v_mov_b32_e32 v32, s6
	v_add_co_u32_e32 v0, vcc, s7, v0
	v_addc_co_u32_e32 v1, vcc, v1, v32, vcc
	global_load_dwordx2 v[33:34], v[0:1], off
	global_load_dwordx2 v[92:93], v[26:27], off offset:1208
	global_load_dwordx2 v[88:89], v[26:27], off offset:1616
	v_add_co_u32_e32 v0, vcc, s7, v0
	v_addc_co_u32_e32 v1, vcc, v1, v32, vcc
	global_load_dwordx2 v[35:36], v[0:1], off
	global_load_dwordx2 v[86:87], v[26:27], off offset:2024
	v_add_co_u32_e32 v0, vcc, s7, v0
	v_addc_co_u32_e32 v1, vcc, v1, v32, vcc
	global_load_dwordx2 v[37:38], v[0:1], off
	global_load_dwordx2 v[84:85], v[26:27], off offset:2432
	s_waitcnt vmcnt(29)
	v_mul_f32_e32 v0, v9, v118
	v_mul_f32_e32 v1, v8, v118
	v_fmac_f32_e32 v0, v8, v117
	v_fma_f32 v1, v9, v117, -v1
	s_waitcnt vmcnt(28)
	v_mul_f32_e32 v8, v11, v116
	v_mul_f32_e32 v9, v10, v116
	v_fmac_f32_e32 v8, v10, v115
	v_fma_f32 v9, v11, v115, -v9
	ds_write2_b64 v127, v[0:1], v[8:9] offset1:51
	s_waitcnt vmcnt(27)
	v_mul_f32_e32 v0, v13, v112
	v_mul_f32_e32 v1, v12, v112
	s_waitcnt vmcnt(26)
	v_mul_f32_e32 v8, v15, v108
	v_mul_f32_e32 v9, v14, v108
	v_fmac_f32_e32 v0, v12, v111
	v_fma_f32 v1, v13, v111, -v1
	v_fmac_f32_e32 v8, v14, v107
	v_fma_f32 v9, v15, v107, -v9
	ds_write2_b64 v127, v[0:1], v[8:9] offset0:102 offset1:153
	v_add_u32_e32 v32, 0xc00, v127
	s_load_dwordx4 s[8:11], s[2:3], 0x0
	s_waitcnt vmcnt(21)
	v_mul_f32_e32 v0, v3, v114
	v_mul_f32_e32 v1, v2, v114
	v_fmac_f32_e32 v0, v2, v113
	v_fma_f32 v1, v3, v113, -v1
	s_waitcnt vmcnt(20)
	v_mul_f32_e32 v2, v5, v110
	v_mul_f32_e32 v3, v4, v110
	v_fmac_f32_e32 v2, v4, v109
	v_fma_f32 v3, v5, v109, -v3
	ds_write2_b64 v127, v[0:1], v[2:3] offset0:204 offset1:255
	s_waitcnt vmcnt(19)
	v_mul_f32_e32 v0, v7, v106
	v_mul_f32_e32 v1, v6, v106
	s_waitcnt vmcnt(18)
	v_mul_f32_e32 v2, v17, v101
	v_mul_f32_e32 v3, v16, v101
	v_fmac_f32_e32 v0, v6, v105
	v_fma_f32 v1, v7, v105, -v1
	v_fmac_f32_e32 v2, v16, v100
	v_fma_f32 v3, v17, v100, -v3
	ds_write2_b64 v130, v[0:1], v[2:3] offset0:50 offset1:101
	s_mov_b32 s2, 0x3f6eb680
	s_waitcnt vmcnt(14)
	v_mul_f32_e32 v0, v19, v104
	v_mul_f32_e32 v1, v18, v104
	s_waitcnt vmcnt(13)
	v_mul_f32_e32 v2, v21, v99
	v_mul_f32_e32 v3, v20, v99
	v_fmac_f32_e32 v0, v18, v103
	v_fma_f32 v1, v19, v103, -v1
	v_fmac_f32_e32 v2, v20, v98
	v_fma_f32 v3, v21, v98, -v3
	ds_write2_b64 v130, v[0:1], v[2:3] offset0:152 offset1:203
	s_waitcnt vmcnt(12)
	v_mul_f32_e32 v0, v23, v95
	v_mul_f32_e32 v1, v22, v95
	v_fmac_f32_e32 v0, v22, v94
	v_fma_f32 v1, v23, v94, -v1
	s_mov_b32 s3, 0x3f3d2fb0
	s_mov_b32 s16, 0x3ee437d1
	;; [unrolled: 1-line block ×4, first 2 shown]
	s_waitcnt vmcnt(9)
	v_mul_f32_e32 v2, v25, v97
	v_mul_f32_e32 v3, v24, v97
	v_fmac_f32_e32 v2, v24, v96
	v_fma_f32 v3, v25, v96, -v3
	ds_write2_b64 v32, v[0:1], v[2:3] offset0:126 offset1:177
	s_waitcnt vmcnt(8)
	v_mul_f32_e32 v0, v29, v91
	v_mul_f32_e32 v1, v28, v91
	v_fmac_f32_e32 v0, v28, v90
	v_fma_f32 v1, v29, v90, -v1
	s_mov_b32 s17, 0xbf1a4643
	s_mov_b32 s7, 0xbf59a7d5
	;; [unrolled: 1-line block ×3, first 2 shown]
	s_waitcnt vmcnt(5)
	v_mul_f32_e32 v2, v31, v93
	v_mul_f32_e32 v3, v30, v93
	v_fmac_f32_e32 v2, v30, v92
	v_fma_f32 v3, v31, v92, -v3
	ds_write2_b64 v131, v[0:1], v[2:3] offset0:100 offset1:151
	s_waitcnt vmcnt(4)
	v_mul_f32_e32 v0, v34, v89
	v_mul_f32_e32 v1, v33, v89
	s_waitcnt vmcnt(2)
	v_mul_f32_e32 v2, v36, v87
	v_mul_f32_e32 v3, v35, v87
	v_fmac_f32_e32 v0, v33, v88
	v_fma_f32 v1, v34, v88, -v1
	v_fmac_f32_e32 v2, v35, v86
	v_fma_f32 v3, v36, v86, -v3
	ds_write2_b64 v131, v[0:1], v[2:3] offset0:202 offset1:253
	s_waitcnt vmcnt(0)
	v_mul_f32_e32 v0, v38, v85
	v_mul_f32_e32 v1, v37, v85
	v_fmac_f32_e32 v0, v37, v84
	v_fma_f32 v1, v38, v84, -v1
	ds_write_b64 v127, v[0:1] offset:6528
	s_waitcnt lgkmcnt(0)
	; wave barrier
	s_waitcnt lgkmcnt(0)
	ds_read2_b64 v[4:7], v127 offset1:51
	ds_read2_b64 v[8:11], v127 offset0:102 offset1:153
	ds_read2_b64 v[12:15], v127 offset0:204 offset1:255
	;; [unrolled: 1-line block ×6, first 2 shown]
	s_waitcnt lgkmcnt(6)
	v_add_f32_e32 v28, v4, v6
	v_add_f32_e32 v29, v5, v7
	s_waitcnt lgkmcnt(5)
	v_add_f32_e32 v28, v28, v8
	v_add_f32_e32 v29, v29, v9
	v_add_f32_e32 v28, v28, v10
	v_add_f32_e32 v29, v29, v11
	s_waitcnt lgkmcnt(4)
	v_add_f32_e32 v28, v28, v12
	v_add_f32_e32 v29, v29, v13
	;; [unrolled: 5-line block ×4, first 2 shown]
	ds_read2_b64 v[37:40], v131 offset0:202 offset1:253
	v_add_f32_e32 v28, v28, v2
	v_add_f32_e32 v29, v29, v3
	s_waitcnt lgkmcnt(2)
	v_add_f32_e32 v28, v28, v24
	v_add_f32_e32 v29, v29, v25
	;; [unrolled: 1-line block ×4, first 2 shown]
	s_waitcnt lgkmcnt(1)
	v_add_f32_e32 v28, v18, v12
	v_add_f32_e32 v30, v26, v20
	;; [unrolled: 1-line block ×3, first 2 shown]
	v_sub_f32_e32 v20, v20, v26
	v_sub_f32_e32 v21, v21, v27
	v_add_f32_e32 v27, v24, v22
	v_add_f32_e32 v26, v25, v23
	v_sub_f32_e32 v24, v22, v24
	v_sub_f32_e32 v23, v23, v25
	v_add_f32_e32 v22, v19, v13
	v_sub_f32_e32 v31, v12, v18
	v_sub_f32_e32 v34, v13, v19
	v_add_f32_e32 v13, v16, v14
	v_add_f32_e32 v12, v17, v15
	v_sub_f32_e32 v25, v14, v16
	v_sub_f32_e32 v33, v15, v17
	v_add_f32_e32 v14, v35, v16
	v_add_f32_e32 v15, v36, v17
	;; [unrolled: 1-line block ×4, first 2 shown]
	s_waitcnt lgkmcnt(0)
	v_add_f32_e32 v16, v39, v8
	v_add_f32_e32 v14, v40, v9
	v_sub_f32_e32 v18, v8, v39
	v_sub_f32_e32 v19, v9, v40
	ds_read_b64 v[8:9], v127 offset:6528
	v_add_f32_e32 v36, v36, v38
	v_add_f32_e32 v35, v35, v37
	;; [unrolled: 1-line block ×4, first 2 shown]
	s_waitcnt lgkmcnt(0)
	v_sub_f32_e32 v36, v7, v9
	v_sub_f32_e32 v10, v10, v37
	v_add_f32_e32 v41, v35, v39
	v_add_f32_e32 v35, v8, v6
	v_mul_f32_e32 v37, 0xbeb8f4ab, v36
	v_mul_f32_e32 v39, 0xbf2c7751, v36
	;; [unrolled: 1-line block ×8, first 2 shown]
	v_sub_f32_e32 v6, v6, v8
	v_add_f32_e32 v15, v38, v11
	v_sub_f32_e32 v11, v11, v38
	v_fma_f32 v38, v35, s2, -v37
	v_fmac_f32_e32 v37, 0x3f6eb680, v35
	v_fma_f32 v40, v35, s3, -v39
	v_fmac_f32_e32 v39, 0x3f3d2fb0, v35
	;; [unrolled: 2-line block ×8, first 2 shown]
	v_mul_f32_e32 v35, 0xbeb8f4ab, v6
	v_mul_f32_e32 v55, 0xbf2c7751, v6
	;; [unrolled: 1-line block ×8, first 2 shown]
	v_add_f32_e32 v7, v9, v7
	v_mov_b32_e32 v54, v35
	v_mov_b32_e32 v56, v55
	;; [unrolled: 1-line block ×8, first 2 shown]
	v_fmac_f32_e32 v54, 0x3f6eb680, v7
	v_fma_f32 v35, v7, s2, -v35
	v_fmac_f32_e32 v56, 0x3f3d2fb0, v7
	v_fma_f32 v55, v7, s3, -v55
	;; [unrolled: 2-line block ×8, first 2 shown]
	v_add_f32_e32 v54, v5, v54
	v_add_f32_e32 v68, v4, v37
	;; [unrolled: 1-line block ×23, first 2 shown]
	v_sub_f32_e32 v43, v0, v2
	v_mul_f32_e32 v0, 0xbf2c7751, v19
	v_add_f32_e32 v7, v4, v38
	v_add_f32_e32 v70, v4, v40
	;; [unrolled: 1-line block ×13, first 2 shown]
	v_sub_f32_e32 v44, v1, v3
	v_fma_f32 v1, v16, s3, -v0
	v_add_f32_e32 v1, v1, v7
	v_mul_f32_e32 v6, 0xbf2c7751, v18
	v_mul_f32_e32 v7, 0xbf65296c, v11
	v_mov_b32_e32 v2, v6
	v_fma_f32 v3, v17, s16, -v7
	v_mul_f32_e32 v8, 0xbf65296c, v10
	v_fmac_f32_e32 v2, 0x3f3d2fb0, v14
	v_add_f32_e32 v1, v3, v1
	v_mov_b32_e32 v3, v8
	v_add_f32_e32 v2, v2, v54
	v_fmac_f32_e32 v3, 0x3ee437d1, v15
	v_mul_f32_e32 v9, 0xbf7ee86f, v34
	v_add_f32_e32 v2, v3, v2
	v_fma_f32 v3, v28, s6, -v9
	v_mul_f32_e32 v49, 0xbf7ee86f, v31
	v_add_f32_e32 v1, v3, v1
	v_mov_b32_e32 v3, v49
	v_fmac_f32_e32 v3, 0x3dbcf732, v22
	v_mul_f32_e32 v50, 0xbf763a35, v33
	v_add_f32_e32 v2, v3, v2
	v_fma_f32 v3, v13, s12, -v50
	v_mul_f32_e32 v51, 0xbf763a35, v25
	v_add_f32_e32 v1, v3, v1
	v_mov_b32_e32 v3, v51
	;; [unrolled: 7-line block ×3, first 2 shown]
	v_fmac_f32_e32 v0, 0x3f3d2fb0, v16
	v_fmac_f32_e32 v3, 0xbf1a4643, v29
	v_mul_f32_e32 v54, 0xbf06c442, v23
	v_add_f32_e32 v0, v0, v68
	v_fma_f32 v6, v14, s3, -v6
	v_fmac_f32_e32 v7, 0x3ee437d1, v17
	v_add_f32_e32 v2, v3, v2
	v_fma_f32 v3, v27, s7, -v54
	v_mul_f32_e32 v63, 0xbf06c442, v24
	v_add_f32_e32 v6, v6, v69
	v_add_f32_e32 v0, v7, v0
	v_fma_f32 v7, v15, s16, -v8
	v_add_f32_e32 v1, v3, v1
	v_mov_b32_e32 v3, v63
	v_add_f32_e32 v6, v7, v6
	v_fma_f32 v7, v22, s6, -v49
	v_fmac_f32_e32 v3, 0xbf59a7d5, v26
	v_mul_f32_e32 v65, 0xbe3c28d5, v44
	v_add_f32_e32 v6, v7, v6
	v_fma_f32 v7, v12, s12, -v51
	v_add_f32_e32 v3, v3, v2
	v_fma_f32 v2, v42, s18, -v65
	;; [unrolled: 2-line block ×3, first 2 shown]
	v_add_f32_e32 v2, v2, v1
	v_mul_f32_e32 v1, 0xbe3c28d5, v43
	v_add_f32_e32 v6, v7, v6
	v_fma_f32 v7, v26, s7, -v63
	v_mov_b32_e32 v66, v1
	v_fmac_f32_e32 v9, 0x3dbcf732, v28
	v_add_f32_e32 v6, v7, v6
	v_fma_f32 v1, v41, s18, -v1
	v_mul_f32_e32 v8, 0xbf7ee86f, v19
	v_add_f32_e32 v0, v9, v0
	v_fmac_f32_e32 v50, 0xbe8c1d8e, v13
	v_add_f32_e32 v1, v1, v6
	v_fma_f32 v6, v16, s6, -v8
	v_mul_f32_e32 v49, 0xbf4c4adb, v11
	v_add_f32_e32 v0, v50, v0
	v_add_f32_e32 v6, v6, v70
	v_mul_f32_e32 v9, 0xbf7ee86f, v18
	v_fma_f32 v50, v17, s17, -v49
	v_mov_b32_e32 v7, v9
	v_add_f32_e32 v6, v50, v6
	v_mul_f32_e32 v50, 0xbf4c4adb, v10
	v_fmac_f32_e32 v7, 0x3dbcf732, v14
	v_mov_b32_e32 v51, v50
	v_add_f32_e32 v7, v7, v56
	v_fmac_f32_e32 v51, 0xbf1a4643, v15
	v_fmac_f32_e32 v52, 0xbf1a4643, v30
	v_add_f32_e32 v7, v51, v7
	v_mul_f32_e32 v51, 0xbe3c28d5, v34
	v_add_f32_e32 v0, v52, v0
	v_fma_f32 v52, v28, s18, -v51
	v_add_f32_e32 v6, v52, v6
	v_mul_f32_e32 v52, 0xbe3c28d5, v31
	v_mov_b32_e32 v53, v52
	v_fmac_f32_e32 v53, 0xbf7ba420, v22
	v_fmac_f32_e32 v54, 0xbf59a7d5, v27
	v_add_f32_e32 v7, v53, v7
	v_mul_f32_e32 v53, 0x3f06c442, v33
	v_add_f32_e32 v0, v54, v0
	v_fma_f32 v54, v13, s7, -v53
	v_add_f32_e32 v6, v54, v6
	v_mul_f32_e32 v54, 0x3f06c442, v25
	v_mov_b32_e32 v56, v54
	v_fmac_f32_e32 v56, 0xbf59a7d5, v12
	v_add_f32_e32 v7, v56, v7
	v_mul_f32_e32 v56, 0x3f763a35, v21
	v_fma_f32 v63, v30, s12, -v56
	v_fmac_f32_e32 v65, 0xbf7ba420, v42
	v_add_f32_e32 v6, v63, v6
	v_mul_f32_e32 v63, 0x3f763a35, v20
	v_add_f32_e32 v0, v65, v0
	v_mov_b32_e32 v65, v63
	v_fmac_f32_e32 v65, 0xbe8c1d8e, v29
	v_fmac_f32_e32 v66, 0xbf7ba420, v41
	v_add_f32_e32 v7, v65, v7
	v_mul_f32_e32 v65, 0x3f65296c, v23
	v_add_f32_e32 v3, v66, v3
	v_fma_f32 v66, v27, s16, -v65
	v_fmac_f32_e32 v8, 0x3dbcf732, v16
	v_add_f32_e32 v6, v66, v6
	v_mul_f32_e32 v66, 0x3f65296c, v24
	v_add_f32_e32 v8, v8, v71
	v_fma_f32 v9, v14, s6, -v9
	v_fmac_f32_e32 v49, 0xbf1a4643, v17
	v_mov_b32_e32 v67, v66
	v_add_f32_e32 v9, v9, v55
	v_add_f32_e32 v8, v49, v8
	v_fma_f32 v49, v15, s17, -v50
	v_fmac_f32_e32 v67, 0x3ee437d1, v26
	v_add_f32_e32 v9, v49, v9
	v_fma_f32 v49, v22, s18, -v52
	v_add_f32_e32 v7, v67, v7
	v_mul_f32_e32 v67, 0x3eb8f4ab, v44
	v_add_f32_e32 v9, v49, v9
	v_fma_f32 v49, v12, s7, -v54
	v_fma_f32 v68, v42, s2, -v67
	v_add_f32_e32 v9, v49, v9
	v_fma_f32 v49, v29, s12, -v63
	v_add_f32_e32 v6, v68, v6
	v_mul_f32_e32 v68, 0x3eb8f4ab, v43
	v_fmac_f32_e32 v51, 0xbf7ba420, v28
	v_add_f32_e32 v9, v49, v9
	v_fma_f32 v49, v26, s16, -v66
	v_add_f32_e32 v8, v51, v8
	v_fmac_f32_e32 v53, 0xbf59a7d5, v13
	v_add_f32_e32 v9, v49, v9
	v_fma_f32 v49, v41, s2, -v68
	v_mul_f32_e32 v51, 0xbf4c4adb, v19
	v_add_f32_e32 v8, v53, v8
	v_add_f32_e32 v9, v49, v9
	v_fma_f32 v49, v16, s17, -v51
	v_mul_f32_e32 v53, 0x3e3c28d5, v11
	v_add_f32_e32 v49, v49, v72
	v_mul_f32_e32 v52, 0xbf4c4adb, v18
	v_fma_f32 v54, v17, s18, -v53
	v_mov_b32_e32 v50, v52
	v_add_f32_e32 v49, v54, v49
	v_mul_f32_e32 v54, 0x3e3c28d5, v10
	v_fmac_f32_e32 v50, 0xbf1a4643, v14
	v_mov_b32_e32 v55, v54
	v_add_f32_e32 v50, v50, v58
	v_fmac_f32_e32 v55, 0xbf7ba420, v15
	v_fmac_f32_e32 v56, 0xbe8c1d8e, v30
	v_add_f32_e32 v50, v55, v50
	v_mul_f32_e32 v55, 0x3f763a35, v34
	v_add_f32_e32 v8, v56, v8
	v_fma_f32 v56, v28, s12, -v55
	v_add_f32_e32 v49, v56, v49
	v_mul_f32_e32 v56, 0x3f763a35, v31
	v_mov_b32_e32 v58, v56
	v_fmac_f32_e32 v58, 0xbe8c1d8e, v22
	v_add_f32_e32 v50, v58, v50
	v_mul_f32_e32 v58, 0x3f2c7751, v33
	v_fma_f32 v63, v13, s3, -v58
	v_fmac_f32_e32 v65, 0x3ee437d1, v27
	v_add_f32_e32 v49, v63, v49
	v_mul_f32_e32 v63, 0x3f2c7751, v25
	v_add_f32_e32 v8, v65, v8
	v_mov_b32_e32 v65, v63
	v_fmac_f32_e32 v65, 0x3f3d2fb0, v12
	v_add_f32_e32 v50, v65, v50
	v_mul_f32_e32 v65, 0xbeb8f4ab, v21
	v_fma_f32 v66, v30, s2, -v65
	v_fmac_f32_e32 v67, 0x3f6eb680, v42
	v_add_f32_e32 v49, v66, v49
	v_mul_f32_e32 v66, 0xbeb8f4ab, v20
	v_add_f32_e32 v8, v67, v8
	v_mov_b32_e32 v67, v66
	v_fmac_f32_e32 v67, 0x3f6eb680, v29
	v_add_f32_e32 v50, v67, v50
	v_mul_f32_e32 v67, 0xbf7ee86f, v23
	v_mov_b32_e32 v69, v68
	v_fma_f32 v68, v27, s6, -v67
	v_fmac_f32_e32 v51, 0xbf1a4643, v16
	v_fmac_f32_e32 v69, 0x3f6eb680, v41
	v_add_f32_e32 v49, v68, v49
	v_mul_f32_e32 v68, 0xbf7ee86f, v24
	v_add_f32_e32 v51, v51, v73
	v_fma_f32 v52, v14, s17, -v52
	v_fmac_f32_e32 v53, 0xbf7ba420, v17
	v_add_f32_e32 v7, v69, v7
	v_mov_b32_e32 v69, v68
	v_add_f32_e32 v52, v52, v57
	v_add_f32_e32 v51, v53, v51
	v_fma_f32 v53, v15, s18, -v54
	v_fmac_f32_e32 v69, 0x3dbcf732, v26
	v_add_f32_e32 v52, v53, v52
	v_fma_f32 v53, v22, s12, -v56
	v_add_f32_e32 v50, v69, v50
	v_mul_f32_e32 v69, 0xbf06c442, v44
	v_add_f32_e32 v52, v53, v52
	v_fma_f32 v53, v12, s3, -v63
	v_fma_f32 v70, v42, s7, -v69
	v_add_f32_e32 v52, v53, v52
	v_fma_f32 v53, v29, s2, -v66
	v_add_f32_e32 v49, v70, v49
	v_mul_f32_e32 v70, 0xbf06c442, v43
	v_fmac_f32_e32 v55, 0xbe8c1d8e, v28
	v_add_f32_e32 v52, v53, v52
	v_fma_f32 v53, v26, s6, -v68
	v_add_f32_e32 v51, v55, v51
	v_add_f32_e32 v52, v53, v52
	v_fma_f32 v53, v41, s7, -v70
	v_mul_f32_e32 v55, 0xbe3c28d5, v19
	v_fmac_f32_e32 v58, 0x3f3d2fb0, v13
	v_add_f32_e32 v52, v53, v52
	v_fma_f32 v53, v16, s18, -v55
	v_mul_f32_e32 v56, 0xbe3c28d5, v18
	v_mul_f32_e32 v57, 0x3f763a35, v11
	v_add_f32_e32 v51, v58, v51
	v_add_f32_e32 v53, v53, v74
	v_mov_b32_e32 v54, v56
	v_fma_f32 v58, v17, s12, -v57
	v_fmac_f32_e32 v54, 0xbf7ba420, v14
	v_add_f32_e32 v53, v58, v53
	v_mul_f32_e32 v58, 0x3f763a35, v10
	v_add_f32_e32 v54, v54, v60
	v_mov_b32_e32 v60, v58
	v_fmac_f32_e32 v60, 0xbe8c1d8e, v15
	v_add_f32_e32 v54, v60, v54
	v_mul_f32_e32 v60, 0x3eb8f4ab, v34
	v_fma_f32 v63, v28, s2, -v60
	v_fmac_f32_e32 v65, 0x3f6eb680, v30
	v_add_f32_e32 v53, v63, v53
	v_mul_f32_e32 v63, 0x3eb8f4ab, v31
	v_add_f32_e32 v51, v65, v51
	v_mov_b32_e32 v65, v63
	v_fmac_f32_e32 v65, 0x3f6eb680, v22
	v_add_f32_e32 v54, v65, v54
	v_mul_f32_e32 v65, 0xbf65296c, v33
	;; [unrolled: 9-line block ×4, first 2 shown]
	v_mov_b32_e32 v71, v70
	v_fma_f32 v70, v27, s17, -v69
	v_fmac_f32_e32 v55, 0xbf7ba420, v16
	v_fmac_f32_e32 v71, 0xbf59a7d5, v41
	v_add_f32_e32 v53, v70, v53
	v_mul_f32_e32 v70, 0x3f4c4adb, v24
	v_add_f32_e32 v55, v55, v75
	v_fma_f32 v56, v14, s18, -v56
	v_fmac_f32_e32 v57, 0xbe8c1d8e, v17
	v_add_f32_e32 v50, v71, v50
	v_mov_b32_e32 v71, v70
	v_add_f32_e32 v56, v56, v59
	v_add_f32_e32 v55, v57, v55
	v_fma_f32 v57, v15, s12, -v58
	v_fmac_f32_e32 v71, 0xbf1a4643, v26
	v_add_f32_e32 v56, v57, v56
	v_fma_f32 v57, v22, s2, -v63
	v_add_f32_e32 v54, v71, v54
	v_mul_f32_e32 v71, 0x3f2c7751, v44
	v_fmac_f32_e32 v60, 0x3f6eb680, v28
	v_add_f32_e32 v56, v57, v56
	v_fma_f32 v57, v12, s16, -v66
	v_fma_f32 v72, v42, s3, -v71
	v_add_f32_e32 v55, v60, v55
	v_add_f32_e32 v56, v57, v56
	v_fma_f32 v57, v29, s7, -v68
	v_mul_f32_e32 v60, 0x3f06c442, v18
	v_add_f32_e32 v53, v72, v53
	v_mul_f32_e32 v72, 0x3f2c7751, v43
	v_add_f32_e32 v56, v57, v56
	v_fma_f32 v57, v26, s17, -v70
	v_mov_b32_e32 v58, v60
	v_add_f32_e32 v56, v57, v56
	v_fma_f32 v57, v41, s3, -v72
	v_mul_f32_e32 v59, 0x3f06c442, v19
	v_fmac_f32_e32 v58, 0xbf59a7d5, v14
	v_add_f32_e32 v56, v57, v56
	v_fma_f32 v57, v16, s7, -v59
	v_add_f32_e32 v58, v58, v62
	v_mul_f32_e32 v62, 0x3f2c7751, v11
	v_add_f32_e32 v57, v57, v76
	v_fma_f32 v63, v17, s3, -v62
	v_fmac_f32_e32 v65, 0x3ee437d1, v13
	v_add_f32_e32 v57, v63, v57
	v_mul_f32_e32 v63, 0x3f2c7751, v10
	v_add_f32_e32 v55, v65, v55
	v_mov_b32_e32 v65, v63
	v_fmac_f32_e32 v65, 0x3f3d2fb0, v15
	v_add_f32_e32 v58, v65, v58
	v_mul_f32_e32 v65, 0xbf65296c, v34
	v_fma_f32 v66, v28, s16, -v65
	v_fmac_f32_e32 v67, 0xbf59a7d5, v30
	v_add_f32_e32 v57, v66, v57
	v_mul_f32_e32 v66, 0xbf65296c, v31
	v_add_f32_e32 v55, v67, v55
	v_mov_b32_e32 v67, v66
	v_fmac_f32_e32 v67, 0x3ee437d1, v22
	v_add_f32_e32 v58, v67, v58
	v_mul_f32_e32 v67, 0xbe3c28d5, v33
	;; [unrolled: 9-line block ×4, first 2 shown]
	v_mov_b32_e32 v73, v72
	v_fma_f32 v72, v27, s2, -v71
	v_fmac_f32_e32 v73, 0x3f3d2fb0, v41
	v_add_f32_e32 v57, v72, v57
	v_mul_f32_e32 v72, 0xbeb8f4ab, v24
	v_fma_f32 v60, v14, s7, -v60
	v_add_f32_e32 v54, v73, v54
	v_mov_b32_e32 v73, v72
	v_fmac_f32_e32 v59, 0xbf59a7d5, v16
	v_add_f32_e32 v60, v60, v61
	v_fma_f32 v61, v15, s3, -v63
	v_fmac_f32_e32 v73, 0x3f6eb680, v26
	v_add_f32_e32 v59, v59, v77
	v_fmac_f32_e32 v62, 0x3f3d2fb0, v17
	v_add_f32_e32 v60, v61, v60
	v_fma_f32 v61, v22, s16, -v66
	v_add_f32_e32 v58, v73, v58
	v_mul_f32_e32 v73, 0xbf4c4adb, v44
	v_add_f32_e32 v59, v62, v59
	v_fmac_f32_e32 v65, 0x3ee437d1, v28
	v_add_f32_e32 v60, v61, v60
	v_fma_f32 v61, v12, s18, -v68
	v_fma_f32 v74, v42, s17, -v73
	v_add_f32_e32 v59, v65, v59
	v_add_f32_e32 v60, v61, v60
	v_fma_f32 v61, v29, s6, -v70
	v_mul_f32_e32 v65, 0x3f763a35, v18
	v_add_f32_e32 v57, v74, v57
	v_mul_f32_e32 v74, 0xbf4c4adb, v43
	v_add_f32_e32 v60, v61, v60
	v_fma_f32 v61, v26, s2, -v72
	v_mov_b32_e32 v62, v65
	v_add_f32_e32 v60, v61, v60
	v_fma_f32 v61, v41, s17, -v74
	v_mul_f32_e32 v63, 0x3f763a35, v19
	v_fmac_f32_e32 v62, 0xbe8c1d8e, v14
	v_add_f32_e32 v60, v61, v60
	v_fma_f32 v61, v16, s12, -v63
	v_add_f32_e32 v62, v62, v64
	v_mul_f32_e32 v64, 0xbeb8f4ab, v11
	v_add_f32_e32 v61, v61, v78
	v_fma_f32 v66, v17, s2, -v64
	v_fmac_f32_e32 v67, 0xbf7ba420, v13
	v_add_f32_e32 v61, v66, v61
	v_mul_f32_e32 v66, 0xbeb8f4ab, v10
	v_add_f32_e32 v59, v67, v59
	v_mov_b32_e32 v67, v66
	v_fmac_f32_e32 v67, 0x3f6eb680, v15
	v_add_f32_e32 v62, v67, v62
	v_mul_f32_e32 v67, 0xbf06c442, v34
	v_fma_f32 v68, v28, s7, -v67
	v_fmac_f32_e32 v69, 0x3dbcf732, v30
	v_add_f32_e32 v61, v68, v61
	v_mul_f32_e32 v68, 0xbf06c442, v31
	v_add_f32_e32 v59, v69, v59
	v_mov_b32_e32 v69, v68
	v_fmac_f32_e32 v69, 0xbf59a7d5, v22
	v_add_f32_e32 v62, v69, v62
	v_mul_f32_e32 v69, 0x3f7ee86f, v33
	;; [unrolled: 9-line block ×4, first 2 shown]
	v_mov_b32_e32 v75, v74
	v_fma_f32 v74, v27, s18, -v73
	v_fmac_f32_e32 v63, 0xbe8c1d8e, v16
	v_fmac_f32_e32 v75, 0xbf1a4643, v41
	v_add_f32_e32 v61, v74, v61
	v_mul_f32_e32 v74, 0xbe3c28d5, v24
	v_add_f32_e32 v48, v63, v48
	v_fma_f32 v63, v14, s12, -v65
	v_fmac_f32_e32 v64, 0x3f6eb680, v17
	v_add_f32_e32 v58, v75, v58
	v_mov_b32_e32 v75, v74
	v_add_f32_e32 v47, v63, v47
	v_add_f32_e32 v48, v64, v48
	v_fma_f32 v63, v15, s2, -v66
	v_fmac_f32_e32 v67, 0xbf59a7d5, v28
	v_fmac_f32_e32 v75, 0xbf7ba420, v26
	v_add_f32_e32 v47, v63, v47
	v_add_f32_e32 v48, v67, v48
	v_fma_f32 v63, v22, s7, -v68
	v_fmac_f32_e32 v69, 0x3dbcf732, v13
	v_add_f32_e32 v62, v75, v62
	v_mul_f32_e32 v75, 0x3f65296c, v44
	v_add_f32_e32 v47, v63, v47
	v_add_f32_e32 v48, v69, v48
	v_fma_f32 v63, v12, s6, -v70
	v_fmac_f32_e32 v71, 0x3f3d2fb0, v30
	v_fma_f32 v76, v42, s16, -v75
	v_add_f32_e32 v47, v63, v47
	v_add_f32_e32 v48, v71, v48
	v_fma_f32 v63, v29, s3, -v72
	v_fmac_f32_e32 v73, 0xbf7ba420, v27
	v_add_f32_e32 v61, v76, v61
	v_mul_f32_e32 v76, 0x3f65296c, v43
	v_add_f32_e32 v47, v63, v47
	v_add_f32_e32 v48, v73, v48
	v_fma_f32 v63, v26, s18, -v74
	v_fmac_f32_e32 v75, 0x3ee437d1, v42
	v_add_f32_e32 v63, v63, v47
	v_add_f32_e32 v47, v75, v48
	v_fma_f32 v48, v41, s16, -v76
	v_add_f32_e32 v48, v48, v63
	v_mul_f32_e32 v63, 0x3f65296c, v19
	v_fma_f32 v64, v16, s16, -v63
	v_add_f32_e32 v46, v64, v46
	v_mul_f32_e32 v64, 0x3f65296c, v18
	v_mov_b32_e32 v65, v64
	v_fmac_f32_e32 v65, 0x3ee437d1, v14
	v_add_f32_e32 v45, v65, v45
	v_mul_f32_e32 v65, 0xbf7ee86f, v11
	v_fma_f32 v66, v17, s6, -v65
	v_add_f32_e32 v46, v66, v46
	v_mul_f32_e32 v66, 0xbf7ee86f, v10
	v_mov_b32_e32 v67, v66
	v_fmac_f32_e32 v67, 0x3dbcf732, v15
	;; [unrolled: 7-line block ×5, first 2 shown]
	v_fmac_f32_e32 v63, 0x3ee437d1, v16
	v_add_f32_e32 v45, v73, v45
	v_mul_f32_e32 v73, 0x3f2c7751, v23
	v_add_f32_e32 v40, v63, v40
	v_fma_f32 v63, v14, s16, -v64
	v_fmac_f32_e32 v65, 0x3dbcf732, v17
	v_fma_f32 v74, v27, s3, -v73
	v_add_f32_e32 v39, v63, v39
	v_add_f32_e32 v40, v65, v40
	v_fma_f32 v63, v15, s6, -v66
	v_fmac_f32_e32 v67, 0xbf1a4643, v28
	v_add_f32_e32 v46, v74, v46
	v_mul_f32_e32 v74, 0x3f2c7751, v24
	v_add_f32_e32 v39, v63, v39
	v_add_f32_e32 v40, v67, v40
	v_fma_f32 v63, v22, s17, -v68
	v_fmac_f32_e32 v69, 0x3f6eb680, v13
	v_mov_b32_e32 v77, v76
	v_mov_b32_e32 v75, v74
	v_add_f32_e32 v39, v63, v39
	v_add_f32_e32 v40, v69, v40
	v_fma_f32 v63, v12, s2, -v70
	v_fmac_f32_e32 v71, 0xbf7ba420, v30
	v_fmac_f32_e32 v77, 0x3ee437d1, v41
	;; [unrolled: 1-line block ×3, first 2 shown]
	v_mul_f32_e32 v76, 0xbf763a35, v44
	v_add_f32_e32 v39, v63, v39
	v_add_f32_e32 v40, v71, v40
	v_fma_f32 v63, v29, s18, -v72
	v_fmac_f32_e32 v73, 0x3f3d2fb0, v27
	v_add_f32_e32 v62, v77, v62
	v_add_f32_e32 v75, v75, v45
	v_fma_f32 v45, v42, s12, -v76
	v_mul_f32_e32 v77, 0xbf763a35, v43
	v_add_f32_e32 v39, v63, v39
	v_add_f32_e32 v40, v73, v40
	v_fma_f32 v63, v26, s3, -v74
	v_fmac_f32_e32 v76, 0xbe8c1d8e, v42
	v_add_f32_e32 v63, v63, v39
	v_add_f32_e32 v39, v76, v40
	v_fma_f32 v40, v41, s12, -v77
	v_mul_f32_e32 v19, 0x3eb8f4ab, v19
	v_add_f32_e32 v40, v40, v63
	v_fma_f32 v63, v16, s2, -v19
	v_mul_f32_e32 v18, 0x3eb8f4ab, v18
	v_add_f32_e32 v38, v63, v38
	v_mov_b32_e32 v63, v18
	v_fmac_f32_e32 v63, 0x3f6eb680, v14
	v_add_f32_e32 v37, v63, v37
	v_mul_f32_e32 v63, 0xbf06c442, v11
	v_fma_f32 v11, v17, s7, -v63
	v_add_f32_e32 v11, v11, v38
	v_mul_f32_e32 v38, 0xbf06c442, v10
	v_mov_b32_e32 v10, v38
	v_fmac_f32_e32 v10, 0xbf59a7d5, v15
	v_mul_f32_e32 v34, 0x3f2c7751, v34
	v_add_f32_e32 v10, v10, v37
	v_fma_f32 v37, v28, s3, -v34
	v_mul_f32_e32 v31, 0x3f2c7751, v31
	v_add_f32_e32 v11, v37, v11
	v_mov_b32_e32 v37, v31
	v_fmac_f32_e32 v37, 0x3f3d2fb0, v22
	v_mul_f32_e32 v33, 0xbf4c4adb, v33
	v_add_f32_e32 v10, v37, v10
	v_fma_f32 v37, v13, s17, -v33
	v_mul_f32_e32 v25, 0xbf4c4adb, v25
	v_add_f32_e32 v11, v37, v11
	v_mov_b32_e32 v37, v25
	v_fmac_f32_e32 v37, 0xbf1a4643, v12
	v_mul_f32_e32 v21, 0x3f65296c, v21
	v_add_f32_e32 v10, v37, v10
	v_fma_f32 v37, v30, s16, -v21
	v_mul_f32_e32 v20, 0x3f65296c, v20
	v_fmac_f32_e32 v19, 0x3f6eb680, v16
	v_add_f32_e32 v11, v37, v11
	v_mov_b32_e32 v37, v20
	v_add_f32_e32 v16, v19, v36
	v_fma_f32 v14, v14, s2, -v18
	v_fmac_f32_e32 v63, 0xbf59a7d5, v17
	v_fmac_f32_e32 v37, 0x3ee437d1, v29
	v_mul_f32_e32 v23, 0xbf763a35, v23
	v_add_f32_e32 v14, v14, v35
	v_add_f32_e32 v16, v63, v16
	v_fma_f32 v15, v15, s7, -v38
	v_fmac_f32_e32 v34, 0x3f3d2fb0, v28
	v_add_f32_e32 v10, v37, v10
	v_fma_f32 v37, v27, s12, -v23
	v_mul_f32_e32 v24, 0xbf763a35, v24
	v_add_f32_e32 v14, v15, v14
	v_add_f32_e32 v15, v34, v16
	v_fma_f32 v16, v22, s3, -v31
	v_fmac_f32_e32 v33, 0xbf1a4643, v13
	v_add_f32_e32 v11, v37, v11
	v_mov_b32_e32 v37, v24
	v_add_f32_e32 v14, v16, v14
	v_add_f32_e32 v13, v33, v15
	v_fma_f32 v12, v12, s17, -v25
	v_fmac_f32_e32 v21, 0x3ee437d1, v30
	v_fmac_f32_e32 v37, 0xbe8c1d8e, v26
	v_mul_f32_e32 v44, 0x3f7ee86f, v44
	v_add_f32_e32 v12, v12, v14
	v_add_f32_e32 v13, v21, v13
	v_fma_f32 v14, v29, s16, -v20
	v_fmac_f32_e32 v23, 0xbe8c1d8e, v27
	v_add_f32_e32 v37, v37, v10
	v_fma_f32 v10, v42, s6, -v44
	v_mul_f32_e32 v43, 0x3f7ee86f, v43
	v_add_f32_e32 v12, v14, v12
	v_add_f32_e32 v13, v23, v13
	v_fma_f32 v14, v26, s12, -v24
	v_fmac_f32_e32 v44, 0x3dbcf732, v42
	v_add_f32_e32 v14, v14, v12
	v_add_f32_e32 v12, v44, v13
	v_fma_f32 v13, v41, s6, -v43
	v_add_f32_e32 v45, v45, v46
	v_mov_b32_e32 v46, v77
	v_add_f32_e32 v10, v10, v11
	v_mov_b32_e32 v11, v43
	v_add_f32_e32 v13, v13, v14
	v_mul_lo_u16_e32 v14, 17, v128
	v_fmac_f32_e32 v46, 0xbe8c1d8e, v41
	v_fmac_f32_e32 v11, 0x3dbcf732, v41
	v_lshlrev_b32_e32 v132, 3, v14
	s_movk_i32 s19, 0xf1
	v_add_f32_e32 v46, v46, v75
	v_add_f32_e32 v11, v11, v37
	s_waitcnt lgkmcnt(0)
	; wave barrier
	ds_write2_b64 v132, v[4:5], v[2:3] offset1:1
	ds_write2_b64 v132, v[6:7], v[49:50] offset0:2 offset1:3
	ds_write2_b64 v132, v[53:54], v[57:58] offset0:4 offset1:5
	;; [unrolled: 1-line block ×7, first 2 shown]
	ds_write_b64 v132, v[0:1] offset:128
	v_mul_lo_u16_sdwa v0, v128, s19 dst_sel:DWORD dst_unused:UNUSED_PAD src0_sel:BYTE_0 src1_sel:DWORD
	v_lshrrev_b16_e32 v56, 12, v0
	v_mul_lo_u16_e32 v0, 17, v56
	v_sub_u16_e32 v0, v128, v0
	v_and_b32_e32 v57, 0xff, v0
	v_lshlrev_b32_e32 v33, 7, v57
	s_waitcnt lgkmcnt(0)
	; wave barrier
	s_waitcnt lgkmcnt(0)
	global_load_dwordx4 v[12:15], v33, s[14:15]
	global_load_dwordx4 v[8:11], v33, s[14:15] offset:16
	global_load_dwordx4 v[4:7], v33, s[14:15] offset:32
	;; [unrolled: 1-line block ×7, first 2 shown]
	ds_read2_b64 v[33:36], v127 offset0:102 offset1:153
	ds_read2_b64 v[37:40], v127 offset0:204 offset1:255
	;; [unrolled: 1-line block ×3, first 2 shown]
	v_mul_u32_u24_e32 v56, 0x121, v56
	s_load_dwordx2 s[4:5], s[4:5], 0x38
	s_waitcnt vmcnt(7) lgkmcnt(0)
	v_mul_f32_e32 v45, v34, v15
	v_fma_f32 v45, v33, v14, -v45
	v_mul_f32_e32 v48, v33, v15
	s_waitcnt vmcnt(6)
	v_mul_f32_e32 v33, v36, v9
	v_fma_f32 v49, v35, v8, -v33
	v_mul_f32_e32 v33, v38, v11
	v_fma_f32 v61, v37, v10, -v33
	s_waitcnt vmcnt(5)
	v_mul_f32_e32 v33, v40, v5
	v_mul_f32_e32 v54, v35, v9
	v_fma_f32 v71, v39, v4, -v33
	v_mul_f32_e32 v33, v42, v7
	v_fmac_f32_e32 v48, v34, v14
	v_fmac_f32_e32 v54, v36, v8
	v_fma_f32 v81, v41, v6, -v33
	ds_read2_b64 v[33:36], v130 offset0:152 offset1:203
	v_mul_f32_e32 v64, v37, v11
	s_waitcnt vmcnt(4)
	v_mul_f32_e32 v37, v44, v1
	v_mul_f32_e32 v74, v39, v5
	v_fma_f32 v137, v43, v0, -v37
	s_waitcnt lgkmcnt(0)
	v_mul_f32_e32 v37, v34, v3
	v_fmac_f32_e32 v64, v38, v10
	v_fmac_f32_e32 v74, v40, v4
	v_fma_f32 v83, v33, v2, -v37
	ds_read2_b64 v[37:40], v32 offset0:126 offset1:177
	s_waitcnt vmcnt(3)
	v_mul_f32_e32 v32, v36, v17
	v_mul_f32_e32 v82, v33, v3
	v_fma_f32 v120, v35, v16, -v32
	v_fmac_f32_e32 v82, v34, v2
	s_waitcnt lgkmcnt(0)
	v_mul_f32_e32 v32, v38, v19
	v_mul_f32_e32 v119, v35, v17
	v_fma_f32 v141, v37, v18, -v32
	ds_read2_b64 v[32:35], v131 offset0:100 offset1:151
	v_fmac_f32_e32 v119, v36, v16
	s_waitcnt vmcnt(2)
	v_mul_f32_e32 v36, v40, v21
	v_mul_f32_e32 v139, v37, v19
	v_fma_f32 v136, v39, v20, -v36
	s_waitcnt lgkmcnt(0)
	v_mul_f32_e32 v36, v33, v23
	v_fmac_f32_e32 v139, v38, v18
	v_mul_f32_e32 v125, v39, v21
	v_fma_f32 v80, v32, v22, -v36
	ds_read2_b64 v[36:39], v131 offset0:202 offset1:253
	v_mul_f32_e32 v76, v32, v23
	s_waitcnt vmcnt(1)
	v_mul_f32_e32 v32, v35, v25
	v_fma_f32 v65, v34, v24, -v32
	v_mul_f32_e32 v70, v34, v25
	s_waitcnt lgkmcnt(0)
	v_mul_f32_e32 v32, v37, v27
	v_mul_f32_e32 v60, v36, v27
	v_fma_f32 v55, v36, v26, -v32
	v_fmac_f32_e32 v60, v37, v26
	s_waitcnt vmcnt(0)
	v_mul_f32_e32 v32, v39, v29
	ds_read_b64 v[36:37], v127 offset:6528
	v_mul_f32_e32 v124, v41, v7
	v_fmac_f32_e32 v76, v33, v22
	v_fmac_f32_e32 v70, v35, v24
	v_fma_f32 v41, v38, v28, -v32
	ds_read2_b64 v[32:35], v127 offset1:51
	v_mul_f32_e32 v133, v43, v1
	v_fmac_f32_e32 v133, v44, v0
	v_mul_f32_e32 v44, v38, v29
	s_waitcnt lgkmcnt(1)
	v_mul_f32_e32 v38, v37, v31
	v_fmac_f32_e32 v125, v40, v20
	v_fma_f32 v40, v36, v30, -v38
	v_mul_f32_e32 v66, v36, v31
	s_waitcnt lgkmcnt(0)
	v_mul_f32_e32 v36, v35, v13
	v_fma_f32 v36, v34, v12, -v36
	v_mul_f32_e32 v34, v34, v13
	v_fmac_f32_e32 v66, v37, v30
	v_fmac_f32_e32 v34, v35, v12
	v_sub_f32_e32 v37, v34, v66
	v_fmac_f32_e32 v124, v42, v6
	v_add_f32_e32 v35, v36, v40
	v_mul_f32_e32 v38, 0xbeb8f4ab, v37
	v_mul_f32_e32 v42, 0xbf2c7751, v37
	v_mul_f32_e32 v46, 0xbf65296c, v37
	v_mul_f32_e32 v50, 0xbf7ee86f, v37
	v_mul_f32_e32 v52, 0xbf763a35, v37
	v_mul_f32_e32 v58, 0xbf4c4adb, v37
	v_mul_f32_e32 v62, 0xbf06c442, v37
	v_mul_f32_e32 v67, 0xbe3c28d5, v37
	v_sub_f32_e32 v37, v36, v40
	v_fmac_f32_e32 v44, v39, v28
	v_fma_f32 v39, v35, s2, -v38
	v_fmac_f32_e32 v38, 0x3f6eb680, v35
	v_fma_f32 v43, v35, s3, -v42
	;; [unrolled: 2-line block ×8, first 2 shown]
	v_fmac_f32_e32 v67, 0xbf7ba420, v35
	v_add_f32_e32 v35, v34, v66
	v_mul_f32_e32 v122, 0xbf763a35, v37
	v_mov_b32_e32 v123, v122
	v_fma_f32 v126, v35, s12, -v122
	v_mul_f32_e32 v122, 0xbf4c4adb, v37
	v_mul_f32_e32 v68, 0xbeb8f4ab, v37
	;; [unrolled: 1-line block ×5, first 2 shown]
	v_mov_b32_e32 v142, v122
	v_fma_f32 v143, v35, s17, -v122
	v_mul_f32_e32 v122, 0xbf06c442, v37
	v_mul_f32_e32 v37, 0xbe3c28d5, v37
	v_mov_b32_e32 v69, v68
	v_mov_b32_e32 v73, v72
	;; [unrolled: 1-line block ×6, first 2 shown]
	v_fmac_f32_e32 v69, 0x3f6eb680, v35
	v_fma_f32 v68, v35, s2, -v68
	v_fmac_f32_e32 v73, 0x3f3d2fb0, v35
	v_fma_f32 v72, v35, s3, -v72
	;; [unrolled: 2-line block ×4, first 2 shown]
	v_fmac_f32_e32 v123, 0xbe8c1d8e, v35
	v_fmac_f32_e32 v142, 0xbf1a4643, v35
	;; [unrolled: 1-line block ×3, first 2 shown]
	v_fma_f32 v145, v35, s7, -v122
	v_fmac_f32_e32 v146, 0xbf7ba420, v35
	v_fma_f32 v147, v35, s18, -v37
	v_add_f32_e32 v148, v32, v36
	v_add_f32_e32 v149, v33, v34
	;; [unrolled: 1-line block ×62, first 2 shown]
	v_sub_f32_e32 v67, v48, v44
	v_add_f32_e32 v32, v32, v40
	v_add_f32_e32 v33, v33, v66
	v_add_f32_e32 v40, v45, v41
	v_sub_f32_e32 v66, v45, v41
	v_add_f32_e32 v41, v48, v44
	v_mul_f32_e32 v44, 0xbf2c7751, v67
	v_fma_f32 v45, v40, s3, -v44
	v_add_f32_e32 v123, v45, v150
	v_mul_f32_e32 v45, 0xbf2c7751, v66
	v_mov_b32_e32 v48, v45
	v_fmac_f32_e32 v48, 0x3f3d2fb0, v41
	v_sub_f32_e32 v77, v54, v60
	v_add_f32_e32 v126, v48, v151
	v_add_f32_e32 v48, v49, v55
	v_sub_f32_e32 v75, v49, v55
	v_add_f32_e32 v49, v54, v60
	v_mul_f32_e32 v54, 0xbf65296c, v77
	v_fma_f32 v55, v48, s16, -v54
	v_add_f32_e32 v142, v55, v123
	v_mul_f32_e32 v55, 0xbf65296c, v75
	v_mov_b32_e32 v60, v55
	v_fmac_f32_e32 v60, 0x3ee437d1, v49
	v_add_f32_e32 v143, v60, v126
	v_sub_f32_e32 v126, v64, v70
	v_add_f32_e32 v60, v61, v65
	v_sub_f32_e32 v123, v61, v65
	v_add_f32_e32 v61, v64, v70
	v_mul_f32_e32 v64, 0xbf7ee86f, v126
	v_fma_f32 v65, v60, s6, -v64
	v_add_f32_e32 v144, v65, v142
	v_mul_f32_e32 v65, 0xbf7ee86f, v123
	v_mov_b32_e32 v70, v65
	v_fmac_f32_e32 v70, 0x3dbcf732, v61
	v_add_f32_e32 v145, v70, v143
	v_sub_f32_e32 v143, v74, v76
	v_add_f32_e32 v70, v71, v80
	v_sub_f32_e32 v142, v71, v80
	v_add_f32_e32 v71, v74, v76
	v_mul_f32_e32 v74, 0xbf763a35, v143
	v_fma_f32 v76, v70, s12, -v74
	v_add_f32_e32 v144, v76, v144
	v_mul_f32_e32 v76, 0xbf763a35, v142
	v_mov_b32_e32 v80, v76
	v_fmac_f32_e32 v80, 0xbe8c1d8e, v71
	v_sub_f32_e32 v146, v124, v125
	v_add_f32_e32 v147, v80, v145
	v_add_f32_e32 v80, v81, v136
	v_sub_f32_e32 v145, v81, v136
	v_add_f32_e32 v81, v124, v125
	v_mul_f32_e32 v124, 0xbf4c4adb, v146
	v_fma_f32 v125, v80, s17, -v124
	v_add_f32_e32 v144, v125, v144
	v_mul_f32_e32 v125, 0xbf4c4adb, v145
	v_mov_b32_e32 v136, v125
	v_fmac_f32_e32 v136, 0xbf1a4643, v81
	v_sub_f32_e32 v148, v133, v139
	v_add_f32_e32 v149, v136, v147
	v_add_f32_e32 v136, v137, v141
	v_sub_f32_e32 v147, v137, v141
	v_add_f32_e32 v137, v133, v139
	v_mul_f32_e32 v139, 0xbf06c442, v148
	v_fma_f32 v133, v136, s7, -v139
	v_mul_f32_e32 v141, 0xbf06c442, v147
	v_add_f32_e32 v133, v133, v144
	v_mov_b32_e32 v144, v141
	v_fmac_f32_e32 v144, 0xbf59a7d5, v137
	v_sub_f32_e32 v165, v82, v119
	v_add_f32_e32 v150, v144, v149
	v_add_f32_e32 v144, v83, v120
	v_sub_f32_e32 v164, v83, v120
	v_add_f32_e32 v83, v82, v119
	v_mul_f32_e32 v82, 0xbe3c28d5, v165
	v_fma_f32 v119, v144, s18, -v82
	v_add_f32_e32 v149, v119, v133
	v_mul_f32_e32 v119, 0xbe3c28d5, v164
	v_mov_b32_e32 v120, v119
	v_fmac_f32_e32 v120, 0xbf7ba420, v83
	v_add_f32_e32 v150, v120, v150
	v_add_lshl_u32 v133, v56, v57, 3
	s_waitcnt lgkmcnt(0)
	; wave barrier
	ds_write2_b64 v133, v[32:33], v[149:150] offset1:17
	v_mul_f32_e32 v32, 0xbf7ee86f, v67
	v_fma_f32 v33, v40, s6, -v32
	v_add_f32_e32 v57, v33, v140
	v_mul_f32_e32 v33, 0xbf7ee86f, v66
	v_mov_b32_e32 v56, v33
	v_fmac_f32_e32 v56, 0x3dbcf732, v41
	v_add_f32_e32 v120, v56, v138
	v_mul_f32_e32 v56, 0xbf4c4adb, v77
	v_fma_f32 v138, v48, s17, -v56
	v_add_f32_e32 v138, v138, v57
	v_mul_f32_e32 v57, 0xbf4c4adb, v75
	v_mov_b32_e32 v140, v57
	v_fmac_f32_e32 v140, 0xbf1a4643, v49
	v_add_f32_e32 v140, v140, v120
	;; [unrolled: 7-line block ×12, first 2 shown]
	v_mul_f32_e32 v170, 0xbf7ee86f, v148
	v_fma_f32 v171, v136, s6, -v170
	v_add_f32_e32 v163, v171, v163
	v_mul_f32_e32 v171, 0xbf7ee86f, v147
	v_mov_b32_e32 v172, v171
	v_fmac_f32_e32 v172, 0x3dbcf732, v137
	v_mul_f32_e32 v173, 0xbf06c442, v165
	v_add_f32_e32 v172, v172, v162
	v_fma_f32 v162, v144, s7, -v173
	v_mul_f32_e32 v174, 0xbf06c442, v164
	v_add_f32_e32 v162, v162, v163
	v_mov_b32_e32 v163, v174
	v_fmac_f32_e32 v163, 0xbf59a7d5, v83
	v_add_f32_e32 v163, v163, v172
	ds_write2_b64 v133, v[160:161], v[162:163] offset0:34 offset1:51
	v_mul_f32_e32 v160, 0xbe3c28d5, v67
	v_fma_f32 v161, v40, s18, -v160
	v_add_f32_e32 v122, v161, v122
	v_mul_f32_e32 v161, 0xbe3c28d5, v66
	v_mov_b32_e32 v162, v161
	v_fmac_f32_e32 v162, 0xbf7ba420, v41
	v_add_f32_e32 v121, v162, v121
	v_mul_f32_e32 v162, 0x3f763a35, v77
	v_fma_f32 v163, v48, s12, -v162
	v_add_f32_e32 v122, v163, v122
	v_mul_f32_e32 v163, 0x3f763a35, v75
	v_mov_b32_e32 v172, v163
	v_fmac_f32_e32 v172, 0xbe8c1d8e, v49
	v_add_f32_e32 v121, v172, v121
	;; [unrolled: 7-line block ×5, first 2 shown]
	v_mul_f32_e32 v180, 0x3f4c4adb, v148
	v_fma_f32 v181, v136, s17, -v180
	v_add_f32_e32 v122, v181, v122
	v_mul_f32_e32 v181, 0x3f4c4adb, v147
	v_mov_b32_e32 v182, v181
	v_fmac_f32_e32 v182, 0xbf1a4643, v137
	v_mul_f32_e32 v183, 0x3f2c7751, v165
	v_add_f32_e32 v182, v182, v121
	v_fma_f32 v121, v144, s3, -v183
	v_mul_f32_e32 v184, 0x3f2c7751, v164
	v_add_f32_e32 v121, v121, v122
	v_mov_b32_e32 v122, v184
	v_fmac_f32_e32 v122, 0x3f3d2fb0, v83
	v_add_f32_e32 v122, v122, v182
	v_mul_f32_e32 v182, 0x3f06c442, v67
	v_fma_f32 v185, v40, s7, -v182
	v_add_f32_e32 v79, v185, v79
	v_mul_f32_e32 v185, 0x3f06c442, v66
	v_mov_b32_e32 v186, v185
	v_fmac_f32_e32 v186, 0xbf59a7d5, v41
	v_add_f32_e32 v78, v186, v78
	v_mul_f32_e32 v186, 0x3f2c7751, v77
	v_fma_f32 v187, v48, s3, -v186
	v_add_f32_e32 v79, v187, v79
	v_mul_f32_e32 v187, 0x3f2c7751, v75
	;; [unrolled: 7-line block ×6, first 2 shown]
	v_mov_b32_e32 v196, v195
	v_fmac_f32_e32 v196, 0x3f6eb680, v137
	v_mul_f32_e32 v197, 0xbf4c4adb, v165
	v_add_f32_e32 v196, v196, v78
	v_fma_f32 v78, v144, s17, -v197
	v_mul_f32_e32 v198, 0xbf4c4adb, v164
	v_add_f32_e32 v78, v78, v79
	v_mov_b32_e32 v79, v198
	v_fmac_f32_e32 v79, 0xbf1a4643, v83
	v_add_f32_e32 v79, v79, v196
	ds_write2_b64 v133, v[121:122], v[78:79] offset0:68 offset1:85
	v_mul_f32_e32 v78, 0x3f763a35, v67
	v_fma_f32 v79, v40, s12, -v78
	v_add_f32_e32 v73, v79, v73
	v_mul_f32_e32 v79, 0x3f763a35, v66
	v_mov_b32_e32 v121, v79
	v_fmac_f32_e32 v121, 0xbe8c1d8e, v41
	v_add_f32_e32 v72, v121, v72
	v_mul_f32_e32 v121, 0xbeb8f4ab, v77
	v_fma_f32 v122, v48, s2, -v121
	v_add_f32_e32 v73, v122, v73
	v_mul_f32_e32 v122, 0xbeb8f4ab, v75
	v_mov_b32_e32 v196, v122
	v_fmac_f32_e32 v196, 0x3f6eb680, v49
	v_add_f32_e32 v72, v196, v72
	v_mul_f32_e32 v196, 0xbf06c442, v126
	v_fma_f32 v199, v60, s7, -v196
	v_add_f32_e32 v73, v199, v73
	v_mul_f32_e32 v199, 0xbf06c442, v123
	v_mov_b32_e32 v200, v199
	v_fmac_f32_e32 v200, 0xbf59a7d5, v61
	v_add_f32_e32 v72, v200, v72
	v_mul_f32_e32 v200, 0x3f7ee86f, v143
	v_fma_f32 v201, v70, s6, -v200
	v_add_f32_e32 v73, v201, v73
	v_mul_f32_e32 v201, 0x3f7ee86f, v142
	v_mov_b32_e32 v202, v201
	v_fmac_f32_e32 v202, 0x3dbcf732, v71
	v_add_f32_e32 v72, v202, v72
	v_mul_f32_e32 v202, 0xbf2c7751, v146
	v_fma_f32 v203, v80, s3, -v202
	v_add_f32_e32 v73, v203, v73
	v_mul_f32_e32 v203, 0xbf2c7751, v145
	v_mov_b32_e32 v204, v203
	v_fmac_f32_e32 v204, 0x3f3d2fb0, v81
	v_add_f32_e32 v72, v204, v72
	v_mul_f32_e32 v204, 0xbe3c28d5, v148
	v_fma_f32 v205, v136, s18, -v204
	v_add_f32_e32 v73, v205, v73
	v_mul_f32_e32 v205, 0xbe3c28d5, v147
	v_mov_b32_e32 v206, v205
	v_fmac_f32_e32 v206, 0xbf7ba420, v137
	v_mul_f32_e32 v207, 0x3f65296c, v165
	v_add_f32_e32 v206, v206, v72
	v_fma_f32 v72, v144, s16, -v207
	v_mul_f32_e32 v208, 0x3f65296c, v164
	v_add_f32_e32 v72, v72, v73
	v_mov_b32_e32 v73, v208
	v_fmac_f32_e32 v73, 0x3ee437d1, v83
	v_add_f32_e32 v73, v73, v206
	v_mul_f32_e32 v206, 0x3f65296c, v67
	v_fma_f32 v209, v40, s16, -v206
	v_add_f32_e32 v69, v209, v69
	v_mul_f32_e32 v209, 0x3f65296c, v66
	v_mov_b32_e32 v210, v209
	v_fmac_f32_e32 v210, 0x3ee437d1, v41
	v_add_f32_e32 v68, v210, v68
	v_mul_f32_e32 v210, 0xbf7ee86f, v77
	v_fma_f32 v211, v48, s6, -v210
	v_add_f32_e32 v69, v211, v69
	v_mul_f32_e32 v211, 0xbf7ee86f, v75
	;; [unrolled: 7-line block ×6, first 2 shown]
	v_mov_b32_e32 v220, v219
	v_fmac_f32_e32 v220, 0x3f3d2fb0, v137
	v_mul_f32_e32 v221, 0xbf763a35, v165
	v_add_f32_e32 v220, v220, v68
	v_fma_f32 v68, v144, s12, -v221
	v_mul_f32_e32 v222, 0xbf763a35, v164
	v_add_f32_e32 v68, v68, v69
	v_mov_b32_e32 v69, v222
	v_fmac_f32_e32 v69, 0xbe8c1d8e, v83
	v_add_f32_e32 v69, v69, v220
	v_mul_f32_e32 v67, 0x3eb8f4ab, v67
	ds_write2_b64 v133, v[72:73], v[68:69] offset0:102 offset1:119
	v_fma_f32 v68, v40, s2, -v67
	v_mul_f32_e32 v66, 0x3eb8f4ab, v66
	v_add_f32_e32 v63, v68, v63
	v_mov_b32_e32 v68, v66
	v_fmac_f32_e32 v68, 0x3f6eb680, v41
	v_add_f32_e32 v62, v68, v62
	v_mul_f32_e32 v68, 0xbf06c442, v77
	v_fma_f32 v69, v48, s7, -v68
	v_add_f32_e32 v63, v69, v63
	v_mul_f32_e32 v69, 0xbf06c442, v75
	v_mov_b32_e32 v72, v69
	v_fmac_f32_e32 v72, 0xbf59a7d5, v49
	v_add_f32_e32 v62, v72, v62
	v_mul_f32_e32 v72, 0x3f2c7751, v126
	v_fma_f32 v73, v60, s3, -v72
	v_add_f32_e32 v63, v73, v63
	v_mul_f32_e32 v73, 0x3f2c7751, v123
	;; [unrolled: 7-line block ×4, first 2 shown]
	v_mov_b32_e32 v142, v126
	v_fmac_f32_e32 v142, 0x3ee437d1, v81
	v_add_f32_e32 v62, v142, v62
	v_mul_f32_e32 v142, 0xbf763a35, v148
	v_fmac_f32_e32 v67, 0x3f6eb680, v40
	v_fma_f32 v143, v136, s12, -v142
	v_add_f32_e32 v59, v67, v59
	v_fma_f32 v66, v41, s2, -v66
	v_fmac_f32_e32 v68, 0xbf59a7d5, v48
	v_add_f32_e32 v63, v143, v63
	v_mul_f32_e32 v143, 0xbf763a35, v147
	v_add_f32_e32 v58, v66, v58
	v_add_f32_e32 v59, v68, v59
	v_fma_f32 v66, v49, s7, -v69
	v_fmac_f32_e32 v72, 0x3f3d2fb0, v60
	v_mov_b32_e32 v145, v143
	v_add_f32_e32 v58, v66, v58
	v_add_f32_e32 v59, v72, v59
	v_fma_f32 v66, v61, s3, -v73
	v_fmac_f32_e32 v75, 0xbf1a4643, v70
	v_fmac_f32_e32 v145, 0xbe8c1d8e, v137
	v_mul_f32_e32 v146, 0x3f7ee86f, v165
	v_add_f32_e32 v58, v66, v58
	v_add_f32_e32 v59, v75, v59
	v_fma_f32 v66, v71, s17, -v77
	v_fmac_f32_e32 v123, 0x3ee437d1, v80
	v_add_f32_e32 v145, v145, v62
	v_fma_f32 v62, v144, s6, -v146
	v_mul_f32_e32 v147, 0x3f7ee86f, v164
	v_add_f32_e32 v58, v66, v58
	v_add_f32_e32 v59, v123, v59
	v_fma_f32 v66, v81, s16, -v126
	v_fmac_f32_e32 v142, 0xbe8c1d8e, v136
	v_add_f32_e32 v62, v62, v63
	v_mov_b32_e32 v63, v147
	v_add_f32_e32 v58, v66, v58
	v_add_f32_e32 v59, v142, v59
	v_fma_f32 v66, v137, s12, -v143
	v_fmac_f32_e32 v146, 0x3dbcf732, v144
	v_fmac_f32_e32 v63, 0x3dbcf732, v83
	v_add_f32_e32 v66, v66, v58
	v_add_f32_e32 v58, v146, v59
	v_fma_f32 v59, v83, s6, -v147
	v_add_f32_e32 v63, v63, v145
	v_add_f32_e32 v59, v59, v66
	v_fmac_f32_e32 v78, 0xbe8c1d8e, v40
	ds_write2_b64 v133, v[62:63], v[58:59] offset0:136 offset1:153
	v_add_f32_e32 v53, v78, v53
	v_fma_f32 v58, v41, s12, -v79
	v_fmac_f32_e32 v121, 0x3f6eb680, v48
	v_add_f32_e32 v52, v58, v52
	v_add_f32_e32 v53, v121, v53
	v_fma_f32 v58, v49, s2, -v122
	v_fmac_f32_e32 v196, 0xbf59a7d5, v60
	v_add_f32_e32 v52, v58, v52
	;; [unrolled: 4-line block ×13, first 2 shown]
	v_add_f32_e32 v50, v221, v51
	v_fma_f32 v51, v83, s12, -v222
	v_add_f32_e32 v51, v51, v58
	v_fmac_f32_e32 v160, 0xbf7ba420, v40
	ds_write2_b64 v133, v[50:51], v[52:53] offset0:170 offset1:187
	v_add_f32_e32 v47, v160, v47
	v_fma_f32 v50, v41, s18, -v161
	v_fmac_f32_e32 v162, 0xbe8c1d8e, v48
	v_add_f32_e32 v46, v50, v46
	v_add_f32_e32 v47, v162, v47
	v_fma_f32 v50, v49, s12, -v163
	v_fmac_f32_e32 v172, 0x3f6eb680, v60
	v_add_f32_e32 v46, v50, v46
	;; [unrolled: 4-line block ×7, first 2 shown]
	v_add_f32_e32 v43, v182, v43
	v_fma_f32 v50, v41, s7, -v185
	v_fmac_f32_e32 v186, 0x3f3d2fb0, v48
	v_fmac_f32_e32 v44, 0x3f3d2fb0, v40
	;; [unrolled: 1-line block ×3, first 2 shown]
	v_add_f32_e32 v42, v50, v42
	v_add_f32_e32 v43, v186, v43
	v_fma_f32 v50, v49, s3, -v187
	v_fmac_f32_e32 v188, 0x3ee437d1, v60
	v_add_f32_e32 v39, v44, v39
	v_fmac_f32_e32 v54, 0x3ee437d1, v48
	v_add_f32_e32 v32, v32, v37
	v_fma_f32 v33, v41, s6, -v33
	v_fmac_f32_e32 v56, 0xbf1a4643, v48
	v_add_f32_e32 v42, v50, v42
	v_add_f32_e32 v43, v188, v43
	v_fma_f32 v50, v61, s16, -v189
	v_fmac_f32_e32 v190, 0xbf7ba420, v70
	v_add_f32_e32 v39, v54, v39
	v_fmac_f32_e32 v64, 0x3dbcf732, v60
	v_add_f32_e32 v33, v33, v36
	v_add_f32_e32 v32, v56, v32
	v_fma_f32 v36, v49, s17, -v57
	v_fmac_f32_e32 v120, 0xbf7ba420, v60
	v_add_f32_e32 v42, v50, v42
	v_add_f32_e32 v43, v190, v43
	v_fma_f32 v50, v71, s18, -v191
	v_fmac_f32_e32 v192, 0x3dbcf732, v80
	v_add_f32_e32 v39, v64, v39
	v_fmac_f32_e32 v74, 0xbe8c1d8e, v70
	v_add_f32_e32 v33, v36, v33
	v_add_f32_e32 v32, v120, v32
	v_fma_f32 v36, v61, s18, -v138
	v_fmac_f32_e32 v140, 0xbf59a7d5, v70
	v_add_f32_e32 v42, v50, v42
	v_add_f32_e32 v43, v192, v43
	v_fma_f32 v50, v81, s6, -v193
	v_fmac_f32_e32 v194, 0x3f6eb680, v136
	v_add_f32_e32 v39, v74, v39
	v_fmac_f32_e32 v124, 0xbf1a4643, v80
	v_add_f32_e32 v33, v36, v33
	v_add_f32_e32 v32, v140, v32
	v_fma_f32 v36, v71, s7, -v149
	v_fmac_f32_e32 v150, 0xbe8c1d8e, v80
	v_add_f32_e32 v42, v50, v42
	v_add_f32_e32 v43, v194, v43
	v_fma_f32 v50, v137, s2, -v195
	v_fmac_f32_e32 v197, 0xbf1a4643, v144
	v_add_f32_e32 v39, v124, v39
	v_fmac_f32_e32 v139, 0xbf59a7d5, v136
	v_add_f32_e32 v33, v36, v33
	v_add_f32_e32 v32, v150, v32
	v_fma_f32 v36, v81, s12, -v151
	v_fmac_f32_e32 v152, 0x3ee437d1, v136
	v_add_f32_e32 v50, v50, v42
	v_add_f32_e32 v42, v197, v43
	v_fma_f32 v43, v83, s17, -v198
	v_add_f32_e32 v39, v139, v39
	v_fmac_f32_e32 v82, 0xbf7ba420, v144
	v_add_f32_e32 v33, v36, v33
	v_add_f32_e32 v32, v152, v32
	v_fma_f32 v36, v137, s16, -v153
	v_fmac_f32_e32 v154, 0x3f6eb680, v144
	v_add_f32_e32 v43, v43, v50
	v_add_f32_e32 v121, v82, v39
	v_fma_f32 v39, v83, s18, -v119
	v_add_f32_e32 v33, v36, v33
	v_add_f32_e32 v119, v154, v32
	v_fma_f32 v32, v83, s2, -v155
	ds_write2_b64 v133, v[42:43], v[46:47] offset0:204 offset1:221
	v_fma_f32 v42, v41, s3, -v45
	v_add_f32_e32 v120, v32, v33
	v_fmac_f32_e32 v156, 0xbf1a4643, v40
	v_fma_f32 v33, v41, s17, -v135
	v_add_f32_e32 v38, v42, v38
	v_fma_f32 v42, v49, s16, -v55
	v_add_f32_e32 v32, v156, v35
	v_add_f32_e32 v33, v33, v34
	v_fmac_f32_e32 v134, 0xbf7ba420, v48
	v_fma_f32 v34, v49, s18, -v157
	v_add_f32_e32 v38, v42, v38
	v_fma_f32 v42, v61, s6, -v65
	v_add_f32_e32 v32, v134, v32
	v_add_f32_e32 v33, v34, v33
	v_fmac_f32_e32 v158, 0xbe8c1d8e, v60
	v_fma_f32 v34, v61, s12, -v159
	v_add_f32_e32 v38, v42, v38
	v_fma_f32 v42, v71, s12, -v76
	v_add_f32_e32 v32, v158, v32
	v_add_f32_e32 v33, v34, v33
	v_fmac_f32_e32 v166, 0x3f3d2fb0, v70
	v_fma_f32 v34, v71, s3, -v167
	v_add_f32_e32 v38, v42, v38
	v_fma_f32 v42, v81, s17, -v125
	v_add_f32_e32 v32, v166, v32
	v_add_f32_e32 v33, v34, v33
	v_fmac_f32_e32 v168, 0x3f6eb680, v80
	v_fma_f32 v34, v81, s2, -v169
	v_add_f32_e32 v38, v42, v38
	v_fma_f32 v42, v137, s7, -v141
	v_add_f32_e32 v32, v168, v32
	v_add_f32_e32 v33, v34, v33
	v_fmac_f32_e32 v170, 0x3dbcf732, v136
	v_fma_f32 v34, v137, s6, -v171
	v_add_f32_e32 v38, v42, v38
	v_add_f32_e32 v32, v170, v32
	;; [unrolled: 1-line block ×3, first 2 shown]
	v_fmac_f32_e32 v173, 0xbf59a7d5, v144
	v_fma_f32 v34, v83, s7, -v174
	v_add_f32_e32 v122, v39, v38
	v_add_f32_e32 v32, v173, v32
	;; [unrolled: 1-line block ×3, first 2 shown]
	ds_write2_b64 v133, v[32:33], v[119:120] offset0:238 offset1:255
	ds_write_b64 v133, v[121:122] offset:2176
	s_waitcnt lgkmcnt(0)
	; wave barrier
	s_waitcnt lgkmcnt(0)
	v_add_u32_e32 v32, 0x400, v127
	ds_read_b64 v[125:126], v127 offset:6256
	ds_read2_b64 v[56:59], v32 offset0:76 offset1:161
	ds_read2_b64 v[64:67], v127 offset1:51
	ds_read2_b64 v[80:83], v131 offset0:66 offset1:117
	ds_read2_b64 v[76:79], v130 offset0:84 offset1:135
	;; [unrolled: 1-line block ×5, first 2 shown]
	v_cmp_gt_u16_e64 s[2:3], 34, v128
                                        ; implicit-def: $vgpr123
	s_and_saveexec_b64 s[6:7], s[2:3]
	s_cbranch_execz .LBB0_3
; %bb.2:
	ds_read_b64 v[119:120], v127 offset:2040
	ds_read_b64 v[121:122], v127 offset:4352
	;; [unrolled: 1-line block ×3, first 2 shown]
.LBB0_3:
	s_or_b64 exec, exec, s[6:7]
	v_lshlrev_b32_e32 v32, 4, v128
	v_add_u32_e32 v33, 0x330, v32
	global_load_dwordx4 v[36:39], v32, s[14:15] offset:2176
	global_load_dwordx4 v[40:43], v33, s[14:15] offset:2176
	v_add_u32_e32 v33, 0x660, v32
	global_load_dwordx4 v[44:47], v33, s[14:15] offset:2176
	v_add_u32_e32 v33, 0x990, v32
	v_add_u32_e32 v32, 0xcc0, v32
	global_load_dwordx4 v[48:51], v33, s[14:15] offset:2176
	global_load_dwordx4 v[52:55], v32, s[14:15] offset:2176
	v_add_co_u32_e32 v32, vcc, 0xff, v128
	s_movk_i32 s12, 0xffde
	v_addc_co_u32_e64 v33, s[6:7], 0, 0, vcc
	v_add_co_u32_e32 v35, vcc, s12, v128
	v_addc_co_u32_e64 v134, s[6:7], 0, -1, vcc
	v_cndmask_b32_e64 v33, v134, v33, s[2:3]
	v_cndmask_b32_e64 v32, v35, v32, s[2:3]
	v_lshlrev_b64 v[32:33], 4, v[32:33]
	v_mov_b32_e32 v34, s15
	v_add_co_u32_e32 v32, vcc, s14, v32
	v_addc_co_u32_e32 v33, vcc, v34, v33, vcc
	global_load_dwordx4 v[32:35], v[32:33], off offset:2176
	s_waitcnt vmcnt(5) lgkmcnt(6)
	v_mul_f32_e32 v134, v59, v37
	v_mul_f32_e32 v135, v58, v37
	s_waitcnt lgkmcnt(4)
	v_mul_f32_e32 v136, v81, v39
	v_mul_f32_e32 v137, v80, v39
	v_fma_f32 v134, v58, v36, -v134
	v_fmac_f32_e32 v135, v59, v36
	v_fma_f32 v80, v80, v38, -v136
	s_waitcnt vmcnt(4)
	v_mul_f32_e32 v59, v83, v43
	v_fmac_f32_e32 v137, v81, v38
	v_mul_f32_e32 v136, v82, v43
	s_waitcnt vmcnt(2) lgkmcnt(0)
	v_mul_f32_e32 v143, v68, v49
	v_mul_f32_e32 v144, v75, v51
	;; [unrolled: 1-line block ×3, first 2 shown]
	v_fma_f32 v82, v82, v42, -v59
	v_add_f32_e32 v59, v134, v80
	v_mul_f32_e32 v58, v77, v41
	v_mul_f32_e32 v81, v76, v41
	;; [unrolled: 1-line block ×3, first 2 shown]
	s_waitcnt vmcnt(1)
	v_mul_f32_e32 v146, v71, v53
	v_fmac_f32_e32 v143, v69, v48
	v_fma_f32 v69, v74, v50, -v144
	v_fmac_f32_e32 v145, v75, v50
	v_add_f32_e32 v75, v135, v137
	v_fma_f32 v74, -0.5, v59, v64
	v_mul_f32_e32 v141, v72, v47
	v_mul_f32_e32 v147, v70, v53
	v_fma_f32 v150, v76, v40, -v58
	v_fmac_f32_e32 v81, v77, v40
	v_fma_f32 v68, v68, v48, -v142
	v_fma_f32 v142, v70, v52, -v146
	v_sub_f32_e32 v70, v135, v137
	v_mov_b32_e32 v76, v74
	s_waitcnt vmcnt(0)
	v_mul_f32_e32 v77, v124, v35
	v_fma_f32 v75, -0.5, v75, v65
	v_mul_f32_e32 v140, v73, v47
	v_fmac_f32_e32 v141, v73, v46
	v_add_f32_e32 v73, v65, v135
	v_fmac_f32_e32 v74, 0xbf5db3d7, v70
	v_fmac_f32_e32 v76, 0x3f5db3d7, v70
	v_fma_f32 v70, v123, v34, -v77
	v_sub_f32_e32 v65, v134, v80
	v_mov_b32_e32 v77, v75
	v_mul_f32_e32 v138, v79, v45
	v_fmac_f32_e32 v77, 0xbf5db3d7, v65
	v_fmac_f32_e32 v75, 0x3f5db3d7, v65
	v_add_f32_e32 v65, v66, v150
	v_mul_f32_e32 v139, v78, v45
	v_fma_f32 v138, v78, v44, -v138
	v_add_f32_e32 v78, v65, v82
	v_add_f32_e32 v65, v150, v82
	v_fmac_f32_e32 v136, v83, v42
	v_add_f32_e32 v58, v64, v134
	v_fma_f32 v66, -0.5, v65, v66
	v_fma_f32 v140, v72, v46, -v140
	v_add_f32_e32 v72, v58, v80
	v_sub_f32_e32 v65, v81, v136
	v_mov_b32_e32 v80, v66
	v_fmac_f32_e32 v80, 0x3f5db3d7, v65
	v_fmac_f32_e32 v66, 0xbf5db3d7, v65
	v_add_f32_e32 v65, v67, v81
	v_fmac_f32_e32 v139, v79, v44
	v_add_f32_e32 v79, v65, v136
	v_add_f32_e32 v65, v81, v136
	v_fmac_f32_e32 v67, -0.5, v65
	v_sub_f32_e32 v65, v150, v82
	v_mov_b32_e32 v81, v67
	v_fmac_f32_e32 v81, 0xbf5db3d7, v65
	v_fmac_f32_e32 v67, 0x3f5db3d7, v65
	v_add_f32_e32 v65, v60, v138
	v_mul_f32_e32 v59, v122, v33
	v_add_f32_e32 v82, v65, v140
	v_add_f32_e32 v65, v138, v140
	v_mul_f32_e32 v58, v121, v33
	v_fma_f32 v59, v121, v32, -v59
	v_fma_f32 v121, -0.5, v65, v60
	v_mul_f32_e32 v64, v123, v35
	v_sub_f32_e32 v60, v139, v141
	v_mov_b32_e32 v123, v121
	v_fmac_f32_e32 v123, 0x3f5db3d7, v60
	v_fmac_f32_e32 v121, 0xbf5db3d7, v60
	v_add_f32_e32 v60, v61, v139
	v_add_f32_e32 v83, v60, v141
	;; [unrolled: 1-line block ×3, first 2 shown]
	v_fmac_f32_e32 v58, v122, v32
	v_fma_f32 v122, -0.5, v60, v61
	v_fmac_f32_e32 v64, v124, v34
	v_sub_f32_e32 v60, v138, v140
	v_mov_b32_e32 v124, v122
	v_mul_f32_e32 v148, v126, v55
	v_fmac_f32_e32 v124, 0xbf5db3d7, v60
	v_fmac_f32_e32 v122, 0x3f5db3d7, v60
	v_add_f32_e32 v60, v62, v68
	v_mul_f32_e32 v149, v125, v55
	v_fmac_f32_e32 v147, v71, v52
	v_fma_f32 v71, v125, v54, -v148
	v_add_f32_e32 v125, v60, v69
	v_add_f32_e32 v60, v68, v69
	v_fma_f32 v62, -0.5, v60, v62
	v_sub_f32_e32 v60, v143, v145
	v_mov_b32_e32 v134, v62
	v_fmac_f32_e32 v134, 0x3f5db3d7, v60
	v_fmac_f32_e32 v62, 0xbf5db3d7, v60
	v_add_f32_e32 v60, v63, v143
	v_fmac_f32_e32 v149, v126, v54
	v_add_f32_e32 v126, v60, v145
	v_add_f32_e32 v60, v143, v145
	v_fmac_f32_e32 v63, -0.5, v60
	v_sub_f32_e32 v60, v68, v69
	v_mov_b32_e32 v135, v63
	v_fmac_f32_e32 v135, 0xbf5db3d7, v60
	v_fmac_f32_e32 v63, 0x3f5db3d7, v60
	v_add_f32_e32 v60, v56, v142
	v_add_f32_e32 v136, v60, v71
	;; [unrolled: 1-line block ×3, first 2 shown]
	v_fma_f32 v56, -0.5, v60, v56
	v_sub_f32_e32 v60, v147, v149
	v_mov_b32_e32 v138, v56
	v_fmac_f32_e32 v138, 0x3f5db3d7, v60
	v_fmac_f32_e32 v56, 0xbf5db3d7, v60
	v_add_f32_e32 v60, v57, v147
	v_add_f32_e32 v73, v73, v137
	;; [unrolled: 1-line block ×4, first 2 shown]
	v_fmac_f32_e32 v57, -0.5, v60
	v_sub_f32_e32 v60, v142, v71
	v_mov_b32_e32 v139, v57
	v_fmac_f32_e32 v139, 0xbf5db3d7, v60
	v_fmac_f32_e32 v57, 0x3f5db3d7, v60
	v_add_f32_e32 v60, v59, v70
	v_add_f32_e32 v65, v58, v64
	v_fma_f32 v60, -0.5, v60, v119
	v_fma_f32 v65, -0.5, v65, v120
	v_sub_f32_e32 v61, v58, v64
	v_mov_b32_e32 v68, v60
	v_sub_f32_e32 v71, v59, v70
	v_mov_b32_e32 v69, v65
	v_fmac_f32_e32 v68, 0xbf5db3d7, v61
	v_fmac_f32_e32 v69, 0x3f5db3d7, v71
	ds_write_b64 v127, v[76:77] offset:2312
	ds_write_b64 v127, v[74:75] offset:4624
	ds_write2_b64 v127, v[72:73], v[78:79] offset1:51
	ds_write2_b64 v130, v[80:81], v[123:124] offset0:84 offset1:135
	ds_write2_b64 v131, v[66:67], v[121:122] offset0:117 offset1:168
	;; [unrolled: 1-line block ×3, first 2 shown]
	ds_write_b64 v127, v[62:63] offset:5848
	ds_write_b64 v127, v[136:137] offset:1632
	ds_write2_b64 v130, v[134:135], v[138:139] offset0:186 offset1:237
	ds_write_b64 v127, v[56:57] offset:6256
	s_and_saveexec_b64 s[6:7], s[2:3]
	s_cbranch_execz .LBB0_5
; %bb.4:
	v_add_f32_e32 v58, v120, v58
	v_mul_f32_e32 v56, 0x3f5db3d7, v61
	v_add_f32_e32 v61, v58, v64
	v_add_f32_e32 v58, v119, v59
	v_mul_f32_e32 v57, 0x3f5db3d7, v71
	v_add_f32_e32 v56, v56, v60
	v_add_f32_e32 v60, v58, v70
	v_sub_f32_e32 v57, v65, v57
	ds_write_b64 v127, v[60:61] offset:2040
	ds_write_b64 v127, v[56:57] offset:4352
	;; [unrolled: 1-line block ×3, first 2 shown]
.LBB0_5:
	s_or_b64 exec, exec, s[6:7]
	v_mov_b32_e32 v56, s13
	v_addc_co_u32_e64 v65, vcc, 0, v56, s[0:1]
	v_add_co_u32_e32 v56, vcc, 0x1b18, v129
	s_mov_b64 s[0:1], vcc
	v_add_co_u32_e32 v57, vcc, 0x1000, v129
	v_addc_co_u32_e32 v58, vcc, 0, v65, vcc
	s_waitcnt lgkmcnt(0)
	; wave barrier
	s_waitcnt lgkmcnt(0)
	global_load_dwordx2 v[60:61], v[57:58], off offset:2840
	v_addc_co_u32_e64 v57, vcc, 0, v65, s[0:1]
	global_load_dwordx2 v[62:63], v[56:57], off offset:408
	global_load_dwordx2 v[70:71], v[56:57], off offset:816
	;; [unrolled: 1-line block ×9, first 2 shown]
	s_movk_i32 s0, 0x2000
	v_add_co_u32_e32 v58, vcc, s0, v129
	v_addc_co_u32_e32 v59, vcc, 0, v65, vcc
	global_load_dwordx2 v[138:139], v[58:59], off offset:3232
	global_load_dwordx2 v[140:141], v[56:57], off offset:4080
                                        ; kill: killed $vgpr56 killed $vgpr57
	global_load_dwordx2 v[142:143], v[58:59], off offset:3640
	global_load_dwordx2 v[144:145], v[58:59], off offset:4048
	s_movk_i32 s0, 0x3000
	v_add_co_u32_e32 v64, vcc, s0, v129
	v_addc_co_u32_e32 v65, vcc, 0, v65, vcc
	global_load_dwordx2 v[146:147], v[64:65], off offset:360
	global_load_dwordx2 v[148:149], v[64:65], off offset:768
	;; [unrolled: 1-line block ×3, first 2 shown]
	ds_read2_b64 v[56:59], v127 offset1:51
	v_add_u32_e32 v72, 0x800, v127
	v_add_u32_e32 v74, 0xc00, v127
	s_mov_b32 s12, 0x3f6eb680
	s_mov_b32 s6, 0x3f3d2fb0
	;; [unrolled: 1-line block ×8, first 2 shown]
	s_waitcnt vmcnt(15) lgkmcnt(0)
	v_mul_f32_e32 v66, v59, v63
	v_mul_f32_e32 v65, v57, v61
	;; [unrolled: 1-line block ×4, first 2 shown]
	v_fma_f32 v63, v56, v60, -v65
	v_fmac_f32_e32 v64, v57, v60
	v_fma_f32 v60, v58, v62, -v66
	v_fmac_f32_e32 v61, v59, v62
	ds_write2_b64 v127, v[63:64], v[60:61] offset1:51
	ds_read2_b64 v[56:59], v127 offset0:102 offset1:153
	ds_read2_b64 v[60:63], v127 offset0:204 offset1:255
	;; [unrolled: 1-line block ×5, first 2 shown]
	s_waitcnt vmcnt(14) lgkmcnt(4)
	v_mul_f32_e32 v73, v57, v71
	v_mul_f32_e32 v153, v56, v71
	s_waitcnt vmcnt(13)
	v_mul_f32_e32 v83, v59, v120
	v_mul_f32_e32 v71, v58, v120
	s_waitcnt vmcnt(12) lgkmcnt(3)
	v_mul_f32_e32 v129, v61, v122
	v_mul_f32_e32 v120, v60, v122
	s_waitcnt vmcnt(11)
	v_mul_f32_e32 v154, v63, v124
	v_mul_f32_e32 v122, v62, v124
	;; [unrolled: 6-line block ×4, first 2 shown]
	v_fma_f32 v152, v56, v70, -v73
	v_fmac_f32_e32 v153, v57, v70
	v_fma_f32 v70, v58, v119, -v83
	v_fmac_f32_e32 v71, v59, v119
	;; [unrolled: 2-line block ×8, first 2 shown]
	ds_write2_b64 v127, v[152:153], v[70:71] offset0:102 offset1:153
	ds_write2_b64 v127, v[119:120], v[121:122] offset0:204 offset1:255
	;; [unrolled: 1-line block ×4, first 2 shown]
	s_waitcnt vmcnt(5) lgkmcnt(4)
	v_mul_f32_e32 v56, v80, v141
	v_add_u32_e32 v73, 0x1000, v127
	v_fma_f32 v60, v79, v140, -v56
	ds_read2_b64 v[56:59], v73 offset0:100 offset1:151
	v_mul_f32_e32 v61, v79, v141
	v_mul_f32_e32 v62, v82, v139
	;; [unrolled: 1-line block ×3, first 2 shown]
	v_fmac_f32_e32 v61, v80, v140
	v_fma_f32 v62, v81, v138, -v62
	v_fmac_f32_e32 v63, v82, v138
	ds_write2_b64 v74, v[60:61], v[62:63] offset0:126 offset1:177
	s_waitcnt vmcnt(4) lgkmcnt(1)
	v_mul_f32_e32 v60, v57, v143
	v_fma_f32 v64, v56, v142, -v60
	ds_read2_b64 v[60:63], v73 offset0:202 offset1:253
	v_mul_f32_e32 v65, v56, v143
	v_fmac_f32_e32 v65, v57, v142
	s_waitcnt vmcnt(3)
	v_mul_f32_e32 v56, v59, v145
	v_mul_f32_e32 v57, v58, v145
	v_fma_f32 v56, v58, v144, -v56
	v_fmac_f32_e32 v57, v59, v144
	ds_read_b64 v[58:59], v127 offset:6528
	ds_write2_b64 v73, v[64:65], v[56:57] offset0:100 offset1:151
	s_waitcnt vmcnt(2) lgkmcnt(2)
	v_mul_f32_e32 v56, v61, v147
	v_mul_f32_e32 v57, v60, v147
	v_fma_f32 v56, v60, v146, -v56
	v_fmac_f32_e32 v57, v61, v146
	s_waitcnt vmcnt(1)
	v_mul_f32_e32 v60, v63, v149
	v_mul_f32_e32 v61, v62, v149
	v_fma_f32 v60, v62, v148, -v60
	v_fmac_f32_e32 v61, v63, v148
	ds_write2_b64 v73, v[56:57], v[60:61] offset0:202 offset1:253
	s_waitcnt vmcnt(0) lgkmcnt(2)
	v_mul_f32_e32 v56, v59, v151
	v_mul_f32_e32 v57, v58, v151
	v_fma_f32 v56, v58, v150, -v56
	v_fmac_f32_e32 v57, v59, v150
	ds_write_b64 v127, v[56:57] offset:6528
	s_waitcnt lgkmcnt(0)
	; wave barrier
	s_waitcnt lgkmcnt(0)
	ds_read2_b64 v[75:78], v127 offset1:51
	ds_read2_b64 v[79:82], v127 offset0:102 offset1:153
	ds_read2_b64 v[119:122], v127 offset0:204 offset1:255
	;; [unrolled: 1-line block ×7, first 2 shown]
	ds_read_b64 v[129:130], v127 offset:6528
	s_waitcnt lgkmcnt(8)
	v_add_f32_e32 v70, v75, v77
	v_add_f32_e32 v71, v76, v78
	s_waitcnt lgkmcnt(7)
	v_add_f32_e32 v70, v70, v79
	v_add_f32_e32 v71, v71, v80
	v_add_f32_e32 v70, v70, v81
	v_add_f32_e32 v71, v71, v82
	s_waitcnt lgkmcnt(6)
	v_add_f32_e32 v70, v70, v119
	v_add_f32_e32 v71, v71, v120
	;; [unrolled: 5-line block ×7, first 2 shown]
	v_add_f32_e32 v70, v70, v136
	s_waitcnt lgkmcnt(0)
	v_add_f32_e32 v131, v130, v78
	v_sub_f32_e32 v78, v78, v130
	v_add_f32_e32 v71, v71, v137
	v_add_f32_e32 v70, v70, v129
	v_add_f32_e32 v83, v129, v77
	v_sub_f32_e32 v77, v77, v129
	v_mul_f32_e32 v129, 0xbeb8f4ab, v78
	v_mul_f32_e32 v140, 0xbf2c7751, v78
	v_mul_f32_e32 v144, 0xbf65296c, v78
	v_mul_f32_e32 v148, 0xbf7ee86f, v78
	v_mul_f32_e32 v152, 0xbf763a35, v78
	v_mul_f32_e32 v156, 0xbf4c4adb, v78
	v_mul_f32_e32 v160, 0xbf06c442, v78
	v_mul_f32_e32 v78, 0xbe3c28d5, v78
	v_add_f32_e32 v71, v71, v130
	v_mov_b32_e32 v130, v129
	v_mov_b32_e32 v141, v140
	;; [unrolled: 1-line block ×8, first 2 shown]
	v_fmac_f32_e32 v130, 0x3f6eb680, v83
	v_mul_f32_e32 v138, 0x3f6eb680, v131
	v_fma_f32 v129, v83, s12, -v129
	v_fmac_f32_e32 v141, 0x3f3d2fb0, v83
	v_mul_f32_e32 v142, 0x3f3d2fb0, v131
	v_fma_f32 v140, v83, s6, -v140
	;; [unrolled: 3-line block ×8, first 2 shown]
	v_add_f32_e32 v130, v75, v130
	v_mov_b32_e32 v139, v138
	v_add_f32_e32 v129, v75, v129
	v_add_f32_e32 v141, v75, v141
	v_mov_b32_e32 v143, v142
	v_add_f32_e32 v140, v75, v140
	;; [unrolled: 3-line block ×8, first 2 shown]
	v_add_f32_e32 v78, v137, v80
	v_sub_f32_e32 v80, v80, v137
	v_fmac_f32_e32 v139, 0x3eb8f4ab, v77
	v_fmac_f32_e32 v138, 0xbeb8f4ab, v77
	;; [unrolled: 1-line block ×16, first 2 shown]
	v_mul_f32_e32 v83, 0xbf2c7751, v80
	v_add_f32_e32 v139, v76, v139
	v_add_f32_e32 v138, v76, v138
	;; [unrolled: 1-line block ×17, first 2 shown]
	v_mov_b32_e32 v131, v83
	v_fmac_f32_e32 v131, 0x3f3d2fb0, v77
	v_sub_f32_e32 v79, v79, v136
	v_add_f32_e32 v130, v131, v130
	v_mul_f32_e32 v131, 0x3f3d2fb0, v78
	v_mov_b32_e32 v136, v131
	v_fma_f32 v83, v77, s6, -v83
	v_fmac_f32_e32 v131, 0xbf2c7751, v79
	v_add_f32_e32 v83, v83, v129
	v_add_f32_e32 v129, v131, v138
	v_mul_f32_e32 v131, 0xbf7ee86f, v80
	v_mov_b32_e32 v137, v131
	v_fma_f32 v131, v77, s0, -v131
	v_fmac_f32_e32 v136, 0x3f2c7751, v79
	v_fmac_f32_e32 v137, 0x3dbcf732, v77
	v_mul_f32_e32 v138, 0x3dbcf732, v78
	v_add_f32_e32 v131, v131, v140
	v_mul_f32_e32 v140, 0xbf4c4adb, v80
	v_add_f32_e32 v136, v136, v139
	v_add_f32_e32 v137, v137, v141
	v_mov_b32_e32 v139, v138
	v_fmac_f32_e32 v138, 0xbf7ee86f, v79
	v_mov_b32_e32 v141, v140
	v_fma_f32 v140, v77, s13, -v140
	v_fmac_f32_e32 v139, 0x3f7ee86f, v79
	v_add_f32_e32 v138, v138, v142
	v_fmac_f32_e32 v141, 0xbf1a4643, v77
	v_mul_f32_e32 v142, 0xbf1a4643, v78
	v_add_f32_e32 v140, v140, v144
	v_mul_f32_e32 v144, 0xbe3c28d5, v80
	v_add_f32_e32 v139, v139, v143
	v_add_f32_e32 v141, v141, v145
	v_mov_b32_e32 v143, v142
	v_fmac_f32_e32 v142, 0xbf4c4adb, v79
	v_mov_b32_e32 v145, v144
	v_fma_f32 v144, v77, s15, -v144
	v_fmac_f32_e32 v143, 0x3f4c4adb, v79
	v_add_f32_e32 v142, v142, v146
	;; [unrolled: 12-line block ×4, first 2 shown]
	v_fmac_f32_e32 v153, 0xbe8c1d8e, v77
	v_mul_f32_e32 v154, 0xbe8c1d8e, v78
	v_add_f32_e32 v152, v152, v156
	v_mul_f32_e32 v156, 0x3f65296c, v80
	v_add_f32_e32 v151, v151, v155
	v_add_f32_e32 v153, v153, v157
	v_mov_b32_e32 v155, v154
	v_fmac_f32_e32 v154, 0x3f763a35, v79
	v_mov_b32_e32 v157, v156
	v_fma_f32 v156, v77, s1, -v156
	v_mul_f32_e32 v80, 0x3eb8f4ab, v80
	v_fmac_f32_e32 v155, 0xbf763a35, v79
	v_add_f32_e32 v154, v154, v158
	v_fmac_f32_e32 v157, 0x3ee437d1, v77
	v_mul_f32_e32 v158, 0x3ee437d1, v78
	v_add_f32_e32 v156, v156, v160
	v_mov_b32_e32 v160, v80
	v_mul_f32_e32 v78, 0x3f6eb680, v78
	v_add_f32_e32 v155, v155, v159
	v_add_f32_e32 v157, v157, v161
	v_mov_b32_e32 v159, v158
	v_fmac_f32_e32 v160, 0x3f6eb680, v77
	v_mov_b32_e32 v161, v78
	v_fma_f32 v77, v77, s12, -v80
	v_sub_f32_e32 v80, v82, v135
	v_fmac_f32_e32 v159, 0xbf65296c, v79
	v_fmac_f32_e32 v158, 0x3f65296c, v79
	v_fmac_f32_e32 v161, 0xbeb8f4ab, v79
	v_add_f32_e32 v75, v77, v75
	v_fmac_f32_e32 v78, 0x3eb8f4ab, v79
	v_add_f32_e32 v77, v134, v81
	v_sub_f32_e32 v79, v81, v134
	v_mul_f32_e32 v81, 0xbf65296c, v80
	v_add_f32_e32 v76, v78, v76
	v_add_f32_e32 v78, v135, v82
	v_mov_b32_e32 v82, v81
	v_fmac_f32_e32 v82, 0x3ee437d1, v77
	v_add_f32_e32 v82, v82, v130
	v_mul_f32_e32 v130, 0x3ee437d1, v78
	v_mov_b32_e32 v134, v130
	v_fma_f32 v81, v77, s1, -v81
	v_fmac_f32_e32 v130, 0xbf65296c, v79
	v_fmac_f32_e32 v134, 0x3f65296c, v79
	v_add_f32_e32 v81, v81, v83
	v_add_f32_e32 v83, v130, v129
	v_mul_f32_e32 v129, 0xbf4c4adb, v80
	v_mul_f32_e32 v135, 0xbf1a4643, v78
	v_add_f32_e32 v134, v134, v136
	v_mov_b32_e32 v130, v129
	v_mov_b32_e32 v136, v135
	v_fma_f32 v129, v77, s13, -v129
	v_fmac_f32_e32 v135, 0xbf4c4adb, v79
	v_fmac_f32_e32 v130, 0xbf1a4643, v77
	v_add_f32_e32 v129, v129, v131
	v_add_f32_e32 v131, v135, v138
	v_mul_f32_e32 v135, 0x3e3c28d5, v80
	v_add_f32_e32 v130, v130, v137
	v_mov_b32_e32 v137, v135
	v_fma_f32 v135, v77, s15, -v135
	v_fmac_f32_e32 v136, 0x3f4c4adb, v79
	v_fmac_f32_e32 v137, 0xbf7ba420, v77
	v_mul_f32_e32 v138, 0xbf7ba420, v78
	v_add_f32_e32 v135, v135, v140
	v_mul_f32_e32 v140, 0x3f763a35, v80
	v_add_f32_e32 v136, v136, v139
	v_add_f32_e32 v137, v137, v141
	v_mov_b32_e32 v139, v138
	v_fmac_f32_e32 v138, 0x3e3c28d5, v79
	v_mov_b32_e32 v141, v140
	v_fma_f32 v140, v77, s7, -v140
	v_fmac_f32_e32 v139, 0xbe3c28d5, v79
	v_add_f32_e32 v138, v138, v142
	v_fmac_f32_e32 v141, 0xbe8c1d8e, v77
	v_mul_f32_e32 v142, 0xbe8c1d8e, v78
	v_add_f32_e32 v140, v140, v144
	v_mul_f32_e32 v144, 0x3f2c7751, v80
	v_add_f32_e32 v139, v139, v143
	v_add_f32_e32 v141, v141, v145
	v_mov_b32_e32 v143, v142
	v_fmac_f32_e32 v142, 0x3f763a35, v79
	v_mov_b32_e32 v145, v144
	v_fma_f32 v144, v77, s6, -v144
	v_fmac_f32_e32 v143, 0xbf763a35, v79
	v_add_f32_e32 v142, v142, v146
	;; [unrolled: 12-line block ×3, first 2 shown]
	v_fmac_f32_e32 v149, 0x3f6eb680, v77
	v_mul_f32_e32 v150, 0x3f6eb680, v78
	v_add_f32_e32 v148, v148, v152
	v_mul_f32_e32 v152, 0xbf7ee86f, v80
	v_add_f32_e32 v147, v147, v151
	v_add_f32_e32 v149, v149, v153
	v_mov_b32_e32 v151, v150
	v_fmac_f32_e32 v150, 0xbeb8f4ab, v79
	v_mov_b32_e32 v153, v152
	v_fma_f32 v152, v77, s0, -v152
	v_mul_f32_e32 v80, 0xbf06c442, v80
	v_fmac_f32_e32 v151, 0x3eb8f4ab, v79
	v_add_f32_e32 v150, v150, v154
	v_fmac_f32_e32 v153, 0x3dbcf732, v77
	v_mul_f32_e32 v154, 0x3dbcf732, v78
	v_add_f32_e32 v152, v152, v156
	v_mov_b32_e32 v156, v80
	v_mul_f32_e32 v78, 0xbf59a7d5, v78
	v_add_f32_e32 v151, v151, v155
	v_add_f32_e32 v153, v153, v157
	v_mov_b32_e32 v155, v154
	v_fmac_f32_e32 v156, 0xbf59a7d5, v77
	v_mov_b32_e32 v157, v78
	v_fma_f32 v77, v77, s14, -v80
	v_sub_f32_e32 v80, v120, v126
	v_fmac_f32_e32 v155, 0x3f7ee86f, v79
	v_fmac_f32_e32 v154, 0xbf7ee86f, v79
	;; [unrolled: 1-line block ×3, first 2 shown]
	v_add_f32_e32 v75, v77, v75
	v_fmac_f32_e32 v78, 0xbf06c442, v79
	v_add_f32_e32 v77, v125, v119
	v_sub_f32_e32 v79, v119, v125
	v_mul_f32_e32 v119, 0xbf7ee86f, v80
	v_add_f32_e32 v76, v78, v76
	v_add_f32_e32 v78, v126, v120
	v_mov_b32_e32 v120, v119
	v_fmac_f32_e32 v120, 0x3dbcf732, v77
	v_add_f32_e32 v82, v120, v82
	v_mul_f32_e32 v120, 0x3dbcf732, v78
	v_fma_f32 v119, v77, s0, -v119
	v_mov_b32_e32 v125, v120
	v_add_f32_e32 v81, v119, v81
	v_fmac_f32_e32 v120, 0xbf7ee86f, v79
	v_mul_f32_e32 v119, 0xbe3c28d5, v80
	v_add_f32_e32 v83, v120, v83
	v_mov_b32_e32 v120, v119
	v_fmac_f32_e32 v120, 0xbf7ba420, v77
	v_mul_f32_e32 v126, 0xbf7ba420, v78
	v_fma_f32 v119, v77, s15, -v119
	v_add_f32_e32 v120, v120, v130
	v_mov_b32_e32 v130, v126
	v_add_f32_e32 v119, v119, v129
	v_fmac_f32_e32 v126, 0xbe3c28d5, v79
	v_mul_f32_e32 v129, 0x3f763a35, v80
	v_fmac_f32_e32 v125, 0x3f7ee86f, v79
	v_add_f32_e32 v126, v126, v131
	v_mov_b32_e32 v131, v129
	v_fma_f32 v129, v77, s7, -v129
	v_add_f32_e32 v125, v125, v134
	v_fmac_f32_e32 v130, 0x3e3c28d5, v79
	v_fmac_f32_e32 v131, 0xbe8c1d8e, v77
	v_mul_f32_e32 v134, 0xbe8c1d8e, v78
	v_add_f32_e32 v129, v129, v135
	v_mul_f32_e32 v135, 0x3eb8f4ab, v80
	v_add_f32_e32 v130, v130, v136
	v_add_f32_e32 v131, v131, v137
	v_mov_b32_e32 v136, v134
	v_fmac_f32_e32 v134, 0x3f763a35, v79
	v_mov_b32_e32 v137, v135
	v_fma_f32 v135, v77, s12, -v135
	v_fmac_f32_e32 v136, 0xbf763a35, v79
	v_add_f32_e32 v134, v134, v138
	v_fmac_f32_e32 v137, 0x3f6eb680, v77
	v_mul_f32_e32 v138, 0x3f6eb680, v78
	v_add_f32_e32 v135, v135, v140
	v_mul_f32_e32 v140, 0xbf65296c, v80
	v_add_f32_e32 v136, v136, v139
	v_add_f32_e32 v137, v137, v141
	v_mov_b32_e32 v139, v138
	v_fmac_f32_e32 v138, 0x3eb8f4ab, v79
	v_mov_b32_e32 v141, v140
	v_fma_f32 v140, v77, s1, -v140
	v_fmac_f32_e32 v139, 0xbeb8f4ab, v79
	v_add_f32_e32 v138, v138, v142
	v_fmac_f32_e32 v141, 0x3ee437d1, v77
	v_mul_f32_e32 v142, 0x3ee437d1, v78
	v_add_f32_e32 v140, v140, v144
	v_mul_f32_e32 v144, 0xbf06c442, v80
	v_add_f32_e32 v139, v139, v143
	v_add_f32_e32 v141, v141, v145
	v_mov_b32_e32 v143, v142
	v_fmac_f32_e32 v142, 0xbf65296c, v79
	v_mov_b32_e32 v145, v144
	v_fma_f32 v144, v77, s14, -v144
	v_fmac_f32_e32 v143, 0x3f65296c, v79
	v_add_f32_e32 v142, v142, v146
	v_fmac_f32_e32 v145, 0xbf59a7d5, v77
	v_mul_f32_e32 v146, 0xbf59a7d5, v78
	v_add_f32_e32 v144, v144, v148
	v_mul_f32_e32 v148, 0x3f4c4adb, v80
	v_add_f32_e32 v143, v143, v147
	v_add_f32_e32 v145, v145, v149
	v_mov_b32_e32 v147, v146
	v_fmac_f32_e32 v146, 0xbf06c442, v79
	v_mov_b32_e32 v149, v148
	v_fma_f32 v148, v77, s13, -v148
	v_mul_f32_e32 v80, 0x3f2c7751, v80
	v_fmac_f32_e32 v147, 0x3f06c442, v79
	v_add_f32_e32 v146, v146, v150
	v_fmac_f32_e32 v149, 0xbf1a4643, v77
	v_mul_f32_e32 v150, 0xbf1a4643, v78
	v_add_f32_e32 v148, v148, v152
	v_mov_b32_e32 v152, v80
	v_mul_f32_e32 v78, 0x3f3d2fb0, v78
	v_add_f32_e32 v147, v147, v151
	v_add_f32_e32 v149, v149, v153
	v_mov_b32_e32 v151, v150
	v_fmac_f32_e32 v152, 0x3f3d2fb0, v77
	v_mov_b32_e32 v153, v78
	v_fma_f32 v77, v77, s6, -v80
	v_sub_f32_e32 v80, v122, v124
	v_fmac_f32_e32 v151, 0xbf4c4adb, v79
	v_fmac_f32_e32 v150, 0x3f4c4adb, v79
	;; [unrolled: 1-line block ×3, first 2 shown]
	v_add_f32_e32 v75, v77, v75
	v_fmac_f32_e32 v78, 0x3f2c7751, v79
	v_add_f32_e32 v77, v123, v121
	v_sub_f32_e32 v79, v121, v123
	v_mul_f32_e32 v121, 0xbf763a35, v80
	v_add_f32_e32 v76, v78, v76
	v_add_f32_e32 v78, v124, v122
	v_mov_b32_e32 v122, v121
	v_fmac_f32_e32 v122, 0xbe8c1d8e, v77
	v_add_f32_e32 v82, v122, v82
	v_mul_f32_e32 v122, 0xbe8c1d8e, v78
	v_fma_f32 v121, v77, s7, -v121
	v_mov_b32_e32 v123, v122
	v_add_f32_e32 v81, v121, v81
	v_fmac_f32_e32 v122, 0xbf763a35, v79
	v_mul_f32_e32 v121, 0x3f06c442, v80
	v_add_f32_e32 v83, v122, v83
	v_mov_b32_e32 v122, v121
	v_fmac_f32_e32 v122, 0xbf59a7d5, v77
	v_add_f32_e32 v120, v122, v120
	v_mul_f32_e32 v122, 0xbf59a7d5, v78
	v_mov_b32_e32 v124, v122
	v_fma_f32 v121, v77, s14, -v121
	v_fmac_f32_e32 v122, 0x3f06c442, v79
	v_fmac_f32_e32 v123, 0x3f763a35, v79
	v_add_f32_e32 v119, v121, v119
	v_add_f32_e32 v121, v122, v126
	v_mul_f32_e32 v122, 0x3f2c7751, v80
	v_add_f32_e32 v123, v123, v125
	v_mov_b32_e32 v125, v122
	v_fma_f32 v122, v77, s6, -v122
	v_fmac_f32_e32 v124, 0xbf06c442, v79
	v_fmac_f32_e32 v125, 0x3f3d2fb0, v77
	v_mul_f32_e32 v126, 0x3f3d2fb0, v78
	v_add_f32_e32 v122, v122, v129
	v_mul_f32_e32 v129, 0xbf65296c, v80
	v_add_f32_e32 v124, v124, v130
	v_add_f32_e32 v125, v125, v131
	v_mov_b32_e32 v130, v126
	v_fmac_f32_e32 v126, 0x3f2c7751, v79
	v_mov_b32_e32 v131, v129
	v_fma_f32 v129, v77, s1, -v129
	v_fmac_f32_e32 v130, 0xbf2c7751, v79
	v_add_f32_e32 v126, v126, v134
	v_fmac_f32_e32 v131, 0x3ee437d1, v77
	v_mul_f32_e32 v134, 0x3ee437d1, v78
	v_add_f32_e32 v129, v129, v135
	v_mul_f32_e32 v135, 0xbe3c28d5, v80
	v_add_f32_e32 v130, v130, v136
	v_add_f32_e32 v131, v131, v137
	v_mov_b32_e32 v136, v134
	v_fmac_f32_e32 v134, 0xbf65296c, v79
	v_mov_b32_e32 v137, v135
	v_fma_f32 v135, v77, s15, -v135
	v_fmac_f32_e32 v136, 0x3f65296c, v79
	v_add_f32_e32 v134, v134, v138
	;; [unrolled: 12-line block ×3, first 2 shown]
	v_fmac_f32_e32 v141, 0x3dbcf732, v77
	v_mul_f32_e32 v142, 0x3dbcf732, v78
	v_add_f32_e32 v140, v140, v144
	v_mul_f32_e32 v144, 0xbeb8f4ab, v80
	v_add_f32_e32 v139, v139, v143
	v_add_f32_e32 v141, v141, v145
	v_mov_b32_e32 v143, v142
	v_fmac_f32_e32 v142, 0x3f7ee86f, v79
	v_mov_b32_e32 v145, v144
	v_add_f32_e32 v142, v142, v146
	v_fmac_f32_e32 v145, 0x3f6eb680, v77
	v_mul_f32_e32 v146, 0x3f6eb680, v78
	v_fma_f32 v144, v77, s12, -v144
	v_mul_f32_e32 v80, 0xbf4c4adb, v80
	v_mul_f32_e32 v78, 0xbf1a4643, v78
	v_add_f32_e32 v145, v145, v149
	v_add_f32_e32 v144, v144, v148
	v_mov_b32_e32 v148, v80
	v_mov_b32_e32 v149, v78
	v_fmac_f32_e32 v78, 0xbf4c4adb, v79
	v_fmac_f32_e32 v148, 0xbf1a4643, v77
	v_fma_f32 v77, v77, s13, -v80
	v_add_f32_e32 v76, v78, v76
	v_add_f32_e32 v78, v67, v61
	v_sub_f32_e32 v61, v61, v67
	v_fmac_f32_e32 v143, 0xbf7ee86f, v79
	v_add_f32_e32 v75, v77, v75
	v_add_f32_e32 v77, v66, v60
	v_sub_f32_e32 v60, v60, v66
	v_mul_f32_e32 v66, 0xbf4c4adb, v61
	v_add_f32_e32 v143, v143, v147
	v_mov_b32_e32 v147, v146
	v_mov_b32_e32 v67, v66
	v_fma_f32 v66, v77, s13, -v66
	v_fmac_f32_e32 v147, 0x3eb8f4ab, v79
	v_fmac_f32_e32 v146, 0xbeb8f4ab, v79
	;; [unrolled: 1-line block ×4, first 2 shown]
	v_mul_f32_e32 v79, 0xbf1a4643, v78
	v_add_f32_e32 v66, v66, v81
	v_mul_f32_e32 v81, 0x3f763a35, v61
	v_add_f32_e32 v67, v67, v82
	v_mov_b32_e32 v80, v79
	v_fmac_f32_e32 v79, 0xbf4c4adb, v60
	v_mov_b32_e32 v82, v81
	v_add_f32_e32 v79, v79, v83
	v_fmac_f32_e32 v82, 0xbe8c1d8e, v77
	v_mul_f32_e32 v83, 0xbe8c1d8e, v78
	v_fmac_f32_e32 v80, 0x3f4c4adb, v60
	v_add_f32_e32 v82, v82, v120
	v_mov_b32_e32 v120, v83
	v_fma_f32 v81, v77, s7, -v81
	v_add_f32_e32 v80, v80, v123
	v_fmac_f32_e32 v120, 0xbf763a35, v60
	v_add_f32_e32 v81, v81, v119
	v_fmac_f32_e32 v83, 0x3f763a35, v60
	v_mul_f32_e32 v119, 0xbeb8f4ab, v61
	v_mul_f32_e32 v123, 0x3f6eb680, v78
	v_add_f32_e32 v120, v120, v124
	v_add_f32_e32 v83, v83, v121
	v_mov_b32_e32 v121, v119
	v_mov_b32_e32 v124, v123
	v_fma_f32 v119, v77, s12, -v119
	v_fmac_f32_e32 v123, 0xbeb8f4ab, v60
	v_fmac_f32_e32 v121, 0x3f6eb680, v77
	v_add_f32_e32 v119, v119, v122
	v_add_f32_e32 v122, v123, v126
	v_mul_f32_e32 v123, 0xbf06c442, v61
	v_add_f32_e32 v121, v121, v125
	v_mov_b32_e32 v125, v123
	v_fma_f32 v123, v77, s14, -v123
	v_fmac_f32_e32 v124, 0x3eb8f4ab, v60
	v_fmac_f32_e32 v125, 0xbf59a7d5, v77
	v_mul_f32_e32 v126, 0xbf59a7d5, v78
	v_add_f32_e32 v123, v123, v129
	v_mul_f32_e32 v129, 0x3f7ee86f, v61
	v_add_f32_e32 v124, v124, v130
	v_add_f32_e32 v125, v125, v131
	v_mov_b32_e32 v130, v126
	v_fmac_f32_e32 v126, 0xbf06c442, v60
	v_mov_b32_e32 v131, v129
	v_fma_f32 v129, v77, s0, -v129
	v_fmac_f32_e32 v130, 0x3f06c442, v60
	v_add_f32_e32 v126, v126, v134
	v_fmac_f32_e32 v131, 0x3dbcf732, v77
	v_mul_f32_e32 v134, 0x3dbcf732, v78
	v_add_f32_e32 v129, v129, v135
	v_mul_f32_e32 v135, 0xbf2c7751, v61
	v_add_f32_e32 v130, v130, v136
	v_add_f32_e32 v131, v131, v137
	v_mov_b32_e32 v136, v134
	v_fmac_f32_e32 v134, 0x3f7ee86f, v60
	v_mov_b32_e32 v137, v135
	v_fma_f32 v135, v77, s6, -v135
	v_fmac_f32_e32 v136, 0xbf7ee86f, v60
	v_add_f32_e32 v134, v134, v138
	v_fmac_f32_e32 v137, 0x3f3d2fb0, v77
	v_mul_f32_e32 v138, 0x3f3d2fb0, v78
	v_add_f32_e32 v135, v135, v140
	v_mul_f32_e32 v140, 0xbe3c28d5, v61
	v_add_f32_e32 v136, v136, v139
	v_add_f32_e32 v137, v137, v141
	v_mov_b32_e32 v139, v138
	v_fmac_f32_e32 v138, 0xbf2c7751, v60
	v_mov_b32_e32 v141, v140
	v_fmac_f32_e32 v139, 0x3f2c7751, v60
	v_add_f32_e32 v138, v138, v142
	v_fmac_f32_e32 v141, 0xbf7ba420, v77
	v_mul_f32_e32 v142, 0xbf7ba420, v78
	v_mul_f32_e32 v78, 0x3ee437d1, v78
	v_add_f32_e32 v139, v139, v143
	v_add_f32_e32 v141, v141, v145
	v_mov_b32_e32 v143, v142
	v_fma_f32 v140, v77, s15, -v140
	v_mul_f32_e32 v61, 0x3f65296c, v61
	v_mov_b32_e32 v145, v78
	v_fmac_f32_e32 v78, 0x3f65296c, v60
	v_fmac_f32_e32 v143, 0x3e3c28d5, v60
	v_add_f32_e32 v140, v140, v144
	v_fmac_f32_e32 v142, 0xbe3c28d5, v60
	v_mov_b32_e32 v144, v61
	v_fmac_f32_e32 v145, 0xbf65296c, v60
	v_fma_f32 v61, v77, s1, -v61
	v_add_f32_e32 v60, v78, v76
	v_add_f32_e32 v76, v65, v63
	v_sub_f32_e32 v63, v63, v65
	v_add_f32_e32 v61, v61, v75
	v_add_f32_e32 v75, v64, v62
	v_sub_f32_e32 v62, v62, v64
	v_mul_f32_e32 v64, 0xbf06c442, v63
	v_mov_b32_e32 v65, v64
	v_fmac_f32_e32 v65, 0xbf59a7d5, v75
	v_add_f32_e32 v65, v65, v67
	v_mul_f32_e32 v67, 0xbf59a7d5, v76
	v_fmac_f32_e32 v144, 0x3ee437d1, v77
	v_mov_b32_e32 v77, v67
	v_fma_f32 v64, v75, s14, -v64
	v_fmac_f32_e32 v67, 0xbf06c442, v62
	v_add_f32_e32 v64, v64, v66
	v_add_f32_e32 v66, v67, v79
	v_mul_f32_e32 v67, 0x3f65296c, v63
	v_mov_b32_e32 v78, v67
	v_fma_f32 v67, v75, s1, -v67
	v_fmac_f32_e32 v77, 0x3f06c442, v62
	v_fmac_f32_e32 v78, 0x3ee437d1, v75
	v_mul_f32_e32 v79, 0x3ee437d1, v76
	v_add_f32_e32 v67, v67, v81
	v_mul_f32_e32 v81, 0xbf7ee86f, v63
	v_add_f32_e32 v77, v77, v80
	v_add_f32_e32 v78, v78, v82
	v_mov_b32_e32 v80, v79
	v_fmac_f32_e32 v79, 0x3f65296c, v62
	v_mov_b32_e32 v82, v81
	v_fma_f32 v81, v75, s0, -v81
	v_fmac_f32_e32 v80, 0xbf65296c, v62
	v_add_f32_e32 v79, v79, v83
	v_fmac_f32_e32 v82, 0x3dbcf732, v75
	v_mul_f32_e32 v83, 0x3dbcf732, v76
	v_add_f32_e32 v81, v81, v119
	v_mul_f32_e32 v119, 0x3f4c4adb, v63
	v_add_f32_e32 v80, v80, v120
	v_add_f32_e32 v82, v82, v121
	v_mov_b32_e32 v120, v83
	v_fmac_f32_e32 v83, 0xbf7ee86f, v62
	v_mov_b32_e32 v121, v119
	v_fma_f32 v119, v75, s13, -v119
	v_fmac_f32_e32 v120, 0x3f7ee86f, v62
	v_add_f32_e32 v83, v83, v122
	;; [unrolled: 12-line block ×3, first 2 shown]
	v_fmac_f32_e32 v125, 0x3f6eb680, v75
	v_mul_f32_e32 v126, 0x3f6eb680, v76
	v_add_f32_e32 v123, v123, v129
	v_mul_f32_e32 v129, 0xbe3c28d5, v63
	v_add_f32_e32 v124, v124, v130
	v_add_f32_e32 v125, v125, v131
	v_mov_b32_e32 v130, v126
	v_fmac_f32_e32 v126, 0xbeb8f4ab, v62
	v_mov_b32_e32 v131, v129
	v_fma_f32 v129, v75, s15, -v129
	v_add_f32_e32 v161, v161, v165
	v_fmac_f32_e32 v130, 0x3eb8f4ab, v62
	v_add_f32_e32 v126, v126, v134
	v_fmac_f32_e32 v131, 0xbf7ba420, v75
	v_mul_f32_e32 v134, 0xbf7ba420, v76
	v_add_f32_e32 v129, v129, v135
	v_mul_f32_e32 v135, 0x3f2c7751, v63
	v_add_f32_e32 v159, v159, v163
	v_add_f32_e32 v160, v160, v164
	;; [unrolled: 1-line block ×5, first 2 shown]
	v_mov_b32_e32 v136, v134
	v_fmac_f32_e32 v134, 0xbe3c28d5, v62
	v_mov_b32_e32 v137, v135
	v_add_f32_e32 v158, v158, v162
	v_add_f32_e32 v155, v155, v159
	;; [unrolled: 1-line block ×5, first 2 shown]
	v_fmac_f32_e32 v137, 0x3f3d2fb0, v75
	v_mul_f32_e32 v138, 0x3f3d2fb0, v76
	v_mul_f32_e32 v76, 0xbe8c1d8e, v76
	v_add_f32_e32 v154, v154, v158
	v_add_f32_e32 v151, v151, v155
	;; [unrolled: 1-line block ×5, first 2 shown]
	v_fma_f32 v135, v75, s6, -v135
	v_mul_f32_e32 v63, 0xbf763a35, v63
	v_mov_b32_e32 v141, v76
	v_add_f32_e32 v150, v150, v154
	v_add_f32_e32 v147, v147, v151
	;; [unrolled: 1-line block ×4, first 2 shown]
	v_fmac_f32_e32 v136, 0x3e3c28d5, v62
	v_add_f32_e32 v135, v135, v140
	v_mov_b32_e32 v140, v63
	v_fmac_f32_e32 v141, 0x3f763a35, v62
	v_add_f32_e32 v146, v146, v150
	v_add_f32_e32 v143, v143, v147
	;; [unrolled: 1-line block ×4, first 2 shown]
	v_mov_b32_e32 v139, v138
	v_fmac_f32_e32 v140, 0xbe8c1d8e, v75
	v_add_f32_e32 v141, v141, v145
	v_add_f32_e32 v145, v59, v57
	v_sub_f32_e32 v147, v57, v59
	v_add_f32_e32 v142, v142, v146
	v_fmac_f32_e32 v139, 0xbf2c7751, v62
	v_fmac_f32_e32 v138, 0x3f2c7751, v62
	v_add_f32_e32 v140, v140, v144
	v_fmac_f32_e32 v76, 0xbf763a35, v62
	v_add_f32_e32 v144, v58, v56
	v_sub_f32_e32 v146, v56, v58
	v_mul_f32_e32 v58, 0xbe3c28d5, v147
	v_mul_f32_e32 v59, 0xbf7ba420, v145
	;; [unrolled: 1-line block ×3, first 2 shown]
	v_add_f32_e32 v139, v139, v143
	v_add_f32_e32 v143, v76, v60
	v_mov_b32_e32 v56, v58
	v_mov_b32_e32 v57, v59
	;; [unrolled: 1-line block ×3, first 2 shown]
	v_fma_f32 v62, v144, s12, -v62
	v_fmac_f32_e32 v56, 0xbf7ba420, v144
	v_fmac_f32_e32 v57, 0x3e3c28d5, v146
	;; [unrolled: 1-line block ×3, first 2 shown]
	v_add_f32_e32 v62, v62, v67
	v_mul_f32_e32 v67, 0xbf59a7d5, v145
	v_fma_f32 v63, v75, s7, -v63
	v_add_f32_e32 v56, v56, v65
	v_add_f32_e32 v57, v57, v77
	v_fma_f32 v58, v144, s15, -v58
	v_add_f32_e32 v59, v59, v66
	v_mul_f32_e32 v66, 0xbf06c442, v147
	v_mov_b32_e32 v65, v67
	v_fmac_f32_e32 v67, 0xbf06c442, v146
	v_mul_f32_e32 v77, 0x3f2c7751, v147
	v_add_f32_e32 v138, v138, v142
	v_add_f32_e32 v142, v63, v61
	;; [unrolled: 1-line block ×3, first 2 shown]
	v_mul_f32_e32 v63, 0x3f6eb680, v145
	v_mov_b32_e32 v64, v66
	v_fma_f32 v66, v144, s14, -v66
	v_add_f32_e32 v67, v67, v83
	v_mov_b32_e32 v75, v77
	v_fma_f32 v77, v144, s6, -v77
	v_mul_f32_e32 v83, 0x3f65296c, v147
	v_fmac_f32_e32 v60, 0x3f6eb680, v144
	v_mov_b32_e32 v61, v63
	v_fmac_f32_e32 v63, 0x3eb8f4ab, v146
	v_fmac_f32_e32 v64, 0xbf59a7d5, v144
	v_add_f32_e32 v66, v66, v81
	v_fmac_f32_e32 v75, 0x3f3d2fb0, v144
	v_add_f32_e32 v77, v77, v119
	v_mul_f32_e32 v81, 0xbf4c4adb, v147
	v_mov_b32_e32 v119, v83
	v_fma_f32 v83, v144, s1, -v83
	v_add_f32_e32 v60, v60, v78
	v_fmac_f32_e32 v61, 0xbeb8f4ab, v146
	v_add_f32_e32 v63, v63, v79
	v_add_f32_e32 v64, v64, v82
	;; [unrolled: 1-line block ×3, first 2 shown]
	v_mul_f32_e32 v78, 0x3f3d2fb0, v145
	v_mov_b32_e32 v79, v81
	v_mul_f32_e32 v82, 0xbf1a4643, v145
	v_fma_f32 v81, v144, s13, -v81
	v_add_f32_e32 v121, v83, v129
	v_mul_f32_e32 v83, 0xbf763a35, v147
	v_add_f32_e32 v61, v61, v80
	v_mov_b32_e32 v76, v78
	v_fmac_f32_e32 v78, 0x3f2c7751, v146
	v_fmac_f32_e32 v79, 0xbf1a4643, v144
	v_mov_b32_e32 v80, v82
	v_add_f32_e32 v81, v81, v123
	v_fmac_f32_e32 v82, 0xbf4c4adb, v146
	v_fmac_f32_e32 v119, 0x3ee437d1, v144
	v_mov_b32_e32 v123, v83
	v_fma_f32 v83, v144, s7, -v83
	v_fmac_f32_e32 v65, 0x3f06c442, v146
	v_fmac_f32_e32 v76, 0xbf2c7751, v146
	v_add_f32_e32 v78, v78, v122
	v_add_f32_e32 v79, v79, v125
	v_fmac_f32_e32 v80, 0x3f4c4adb, v146
	v_add_f32_e32 v82, v82, v126
	v_add_f32_e32 v119, v119, v131
	v_mul_f32_e32 v122, 0x3ee437d1, v145
	v_mul_f32_e32 v126, 0xbe8c1d8e, v145
	v_add_f32_e32 v125, v83, v135
	v_mul_f32_e32 v83, 0x3f7ee86f, v147
	v_mul_f32_e32 v131, 0x3dbcf732, v145
	v_add_f32_e32 v65, v65, v120
	v_add_f32_e32 v76, v76, v124
	v_add_f32_e32 v80, v80, v130
	v_mov_b32_e32 v120, v122
	v_mov_b32_e32 v124, v126
	;; [unrolled: 1-line block ×4, first 2 shown]
	v_fmac_f32_e32 v120, 0xbf65296c, v146
	v_fmac_f32_e32 v122, 0x3f65296c, v146
	;; [unrolled: 1-line block ×7, first 2 shown]
	v_add_f32_e32 v120, v120, v136
	v_add_f32_e32 v122, v122, v134
	v_add_f32_e32 v123, v123, v137
	v_add_f32_e32 v124, v124, v139
	v_add_f32_e32 v126, v126, v138
	v_add_f32_e32 v129, v129, v140
	v_add_f32_e32 v130, v130, v141
	v_fma_f32 v83, v144, s0, -v83
	v_fmac_f32_e32 v131, 0x3f7ee86f, v146
	v_add_f32_e32 v134, v83, v142
	v_add_f32_e32 v135, v131, v143
	s_waitcnt lgkmcnt(0)
	; wave barrier
	ds_write2_b64 v132, v[70:71], v[56:57] offset1:1
	ds_write2_b64 v132, v[60:61], v[64:65] offset0:2 offset1:3
	ds_write2_b64 v132, v[75:76], v[79:80] offset0:4 offset1:5
	;; [unrolled: 1-line block ×7, first 2 shown]
	ds_write_b64 v132, v[58:59] offset:128
	s_waitcnt lgkmcnt(0)
	; wave barrier
	s_waitcnt lgkmcnt(0)
	ds_read2_b64 v[56:59], v127 offset1:51
	ds_read2_b64 v[60:63], v127 offset0:102 offset1:153
	ds_read2_b64 v[64:67], v127 offset0:204 offset1:255
	;; [unrolled: 1-line block ×7, first 2 shown]
	ds_read_b64 v[70:71], v127 offset:6528
	s_waitcnt lgkmcnt(8)
	v_mul_f32_e32 v74, v13, v59
	v_mul_f32_e32 v13, v13, v58
	v_fmac_f32_e32 v74, v12, v58
	v_fma_f32 v58, v12, v59, -v13
	s_waitcnt lgkmcnt(7)
	v_mul_f32_e32 v59, v15, v61
	v_mul_f32_e32 v12, v15, v60
	v_fmac_f32_e32 v59, v14, v60
	v_fma_f32 v60, v14, v61, -v12
	v_mul_f32_e32 v61, v9, v63
	v_mul_f32_e32 v9, v9, v62
	v_fmac_f32_e32 v61, v8, v62
	v_fma_f32 v62, v8, v63, -v9
	s_waitcnt lgkmcnt(6)
	v_mul_f32_e32 v63, v11, v65
	v_mul_f32_e32 v8, v11, v64
	;; [unrolled: 1-line block ×4, first 2 shown]
	v_fmac_f32_e32 v63, v10, v64
	v_fma_f32 v64, v10, v65, -v8
	v_fmac_f32_e32 v14, v4, v66
	v_fma_f32 v15, v4, v67, -v5
	s_waitcnt lgkmcnt(5)
	v_mul_f32_e32 v10, v7, v76
	v_mul_f32_e32 v4, v7, v75
	v_fmac_f32_e32 v10, v6, v75
	v_fma_f32 v11, v6, v76, -v4
	v_mul_f32_e32 v6, v1, v78
	v_mul_f32_e32 v1, v1, v77
	v_fmac_f32_e32 v6, v0, v77
	v_fma_f32 v7, v0, v78, -v1
	s_waitcnt lgkmcnt(4)
	v_mul_f32_e32 v4, v3, v80
	v_mul_f32_e32 v0, v3, v79
	v_fmac_f32_e32 v4, v2, v79
	v_fma_f32 v2, v2, v80, -v0
	v_mul_f32_e32 v0, v17, v81
	v_fma_f32 v5, v16, v82, -v0
	s_waitcnt lgkmcnt(3)
	v_mul_f32_e32 v0, v19, v119
	v_fma_f32 v9, v18, v120, -v0
	v_mul_f32_e32 v0, v21, v121
	v_fma_f32 v13, v20, v122, -v0
	s_waitcnt lgkmcnt(2)
	v_mul_f32_e32 v0, v23, v123
	v_mul_f32_e32 v3, v17, v82
	v_fma_f32 v17, v22, v124, -v0
	v_mul_f32_e32 v0, v25, v125
	v_mul_f32_e32 v8, v19, v120
	v_fma_f32 v19, v24, v126, -v0
	s_waitcnt lgkmcnt(1)
	v_mul_f32_e32 v0, v27, v129
	v_mul_f32_e32 v12, v21, v122
	v_fma_f32 v21, v26, v130, -v0
	v_mul_f32_e32 v0, v29, v131
	v_fmac_f32_e32 v3, v16, v81
	v_mul_f32_e32 v16, v23, v124
	v_fma_f32 v23, v28, v132, -v0
	s_waitcnt lgkmcnt(0)
	v_mul_f32_e32 v0, v31, v70
	v_add_f32_e32 v1, v57, v58
	v_fmac_f32_e32 v8, v18, v119
	v_mul_f32_e32 v18, v25, v126
	v_fma_f32 v25, v30, v71, -v0
	v_add_f32_e32 v0, v56, v74
	v_add_f32_e32 v1, v1, v60
	;; [unrolled: 1-line block ×18, first 2 shown]
	v_fmac_f32_e32 v12, v20, v121
	v_add_f32_e32 v0, v0, v8
	v_add_f32_e32 v1, v1, v13
	v_fmac_f32_e32 v16, v22, v123
	v_add_f32_e32 v0, v0, v12
	v_add_f32_e32 v1, v1, v17
	v_fmac_f32_e32 v18, v24, v125
	v_mul_f32_e32 v20, v27, v130
	v_add_f32_e32 v0, v0, v16
	v_add_f32_e32 v1, v1, v19
	v_fmac_f32_e32 v20, v26, v129
	v_mul_f32_e32 v22, v29, v132
	;; [unrolled: 4-line block ×3, first 2 shown]
	v_add_f32_e32 v0, v0, v20
	v_add_f32_e32 v1, v1, v23
	v_fmac_f32_e32 v24, v30, v70
	v_add_f32_e32 v0, v0, v22
	v_add_f32_e32 v1, v1, v25
	;; [unrolled: 1-line block ×3, first 2 shown]
	v_sub_f32_e32 v25, v58, v25
	v_add_f32_e32 v0, v0, v24
	v_add_f32_e32 v26, v74, v24
	v_sub_f32_e32 v24, v74, v24
	v_mul_f32_e32 v28, 0xbeb8f4ab, v25
	v_mul_f32_e32 v30, 0x3f6eb680, v27
	;; [unrolled: 1-line block ×16, first 2 shown]
	v_mov_b32_e32 v29, v28
	v_mov_b32_e32 v31, v30
	;; [unrolled: 1-line block ×16, first 2 shown]
	v_fmac_f32_e32 v27, 0xbe3c28d5, v24
	v_fmac_f32_e32 v29, 0x3f6eb680, v26
	v_fmac_f32_e32 v31, 0x3eb8f4ab, v24
	v_fma_f32 v28, v26, s12, -v28
	v_fmac_f32_e32 v30, 0xbeb8f4ab, v24
	v_fmac_f32_e32 v65, 0x3f3d2fb0, v26
	v_fmac_f32_e32 v67, 0x3f2c7751, v24
	v_fma_f32 v58, v26, s6, -v58
	;; [unrolled: 4-line block ×8, first 2 shown]
	v_add_f32_e32 v24, v57, v27
	v_add_f32_e32 v27, v60, v23
	v_sub_f32_e32 v23, v60, v23
	v_add_f32_e32 v29, v56, v29
	v_add_f32_e32 v28, v56, v28
	;; [unrolled: 1-line block ×16, first 2 shown]
	v_mul_f32_e32 v56, 0xbf2c7751, v23
	v_add_f32_e32 v31, v57, v31
	v_add_f32_e32 v30, v57, v30
	;; [unrolled: 1-line block ×16, first 2 shown]
	v_mov_b32_e32 v57, v56
	v_fmac_f32_e32 v57, 0x3f3d2fb0, v26
	v_add_f32_e32 v29, v57, v29
	v_mul_f32_e32 v57, 0x3f3d2fb0, v27
	v_sub_f32_e32 v22, v59, v22
	v_mov_b32_e32 v59, v57
	v_fmac_f32_e32 v59, 0x3f2c7751, v22
	v_fma_f32 v56, v26, s6, -v56
	v_add_f32_e32 v31, v59, v31
	v_add_f32_e32 v28, v56, v28
	v_fmac_f32_e32 v57, 0xbf2c7751, v22
	v_mul_f32_e32 v56, 0xbf7ee86f, v23
	v_mul_f32_e32 v59, 0x3dbcf732, v27
	v_add_f32_e32 v30, v57, v30
	v_mov_b32_e32 v57, v56
	v_mov_b32_e32 v60, v59
	v_fma_f32 v56, v26, s0, -v56
	v_fmac_f32_e32 v59, 0xbf7ee86f, v22
	v_fmac_f32_e32 v57, 0x3dbcf732, v26
	v_add_f32_e32 v56, v56, v58
	v_add_f32_e32 v58, v59, v66
	v_mul_f32_e32 v59, 0xbf4c4adb, v23
	v_add_f32_e32 v57, v57, v65
	v_mov_b32_e32 v65, v59
	v_fma_f32 v59, v26, s13, -v59
	v_fmac_f32_e32 v65, 0xbf1a4643, v26
	v_add_f32_e32 v59, v59, v70
	v_mul_f32_e32 v70, 0xbe3c28d5, v23
	v_fmac_f32_e32 v60, 0x3f7ee86f, v22
	v_add_f32_e32 v65, v65, v71
	v_mul_f32_e32 v66, 0xbf1a4643, v27
	v_mov_b32_e32 v71, v70
	v_fma_f32 v70, v26, s15, -v70
	v_add_f32_e32 v60, v60, v67
	v_mov_b32_e32 v67, v66
	v_fmac_f32_e32 v66, 0xbf4c4adb, v22
	v_fmac_f32_e32 v71, 0xbf7ba420, v26
	v_add_f32_e32 v70, v70, v76
	v_mul_f32_e32 v76, 0x3f06c442, v23
	v_fmac_f32_e32 v67, 0x3f4c4adb, v22
	v_add_f32_e32 v66, v66, v74
	v_add_f32_e32 v71, v71, v77
	v_mul_f32_e32 v74, 0xbf7ba420, v27
	v_mov_b32_e32 v77, v76
	v_fma_f32 v76, v26, s14, -v76
	v_add_f32_e32 v67, v67, v75
	v_mov_b32_e32 v75, v74
	v_fmac_f32_e32 v74, 0xbe3c28d5, v22
	v_fmac_f32_e32 v77, 0xbf59a7d5, v26
	v_add_f32_e32 v76, v76, v80
	v_mul_f32_e32 v80, 0x3f763a35, v23
	v_fmac_f32_e32 v75, 0x3e3c28d5, v22
	v_add_f32_e32 v74, v74, v78
	;; [unrolled: 12-line block ×3, first 2 shown]
	v_add_f32_e32 v81, v81, v120
	v_mul_f32_e32 v82, 0xbe8c1d8e, v27
	v_mov_b32_e32 v120, v119
	v_fma_f32 v119, v26, s1, -v119
	v_mul_f32_e32 v23, 0x3eb8f4ab, v23
	v_add_f32_e32 v79, v79, v83
	v_mov_b32_e32 v83, v82
	v_fmac_f32_e32 v82, 0x3f763a35, v22
	v_add_f32_e32 v119, v119, v123
	v_mov_b32_e32 v123, v23
	v_fma_f32 v23, v26, s12, -v23
	v_fmac_f32_e32 v83, 0xbf763a35, v22
	v_add_f32_e32 v82, v82, v121
	v_fmac_f32_e32 v120, 0x3ee437d1, v26
	v_mul_f32_e32 v121, 0x3ee437d1, v27
	v_mul_f32_e32 v27, 0x3f6eb680, v27
	v_add_f32_e32 v23, v23, v25
	v_add_f32_e32 v25, v62, v21
	v_sub_f32_e32 v21, v62, v21
	v_add_f32_e32 v83, v83, v122
	v_add_f32_e32 v120, v120, v124
	v_mov_b32_e32 v122, v121
	v_fmac_f32_e32 v123, 0x3f6eb680, v26
	v_mov_b32_e32 v124, v27
	v_fmac_f32_e32 v27, 0x3eb8f4ab, v22
	v_mul_f32_e32 v26, 0xbf65296c, v21
	v_fmac_f32_e32 v122, 0xbf65296c, v22
	v_fmac_f32_e32 v121, 0x3f65296c, v22
	v_fmac_f32_e32 v124, 0xbeb8f4ab, v22
	v_add_f32_e32 v22, v27, v24
	v_add_f32_e32 v24, v61, v20
	v_mov_b32_e32 v27, v26
	v_fmac_f32_e32 v27, 0x3ee437d1, v24
	v_sub_f32_e32 v20, v61, v20
	v_add_f32_e32 v27, v27, v29
	v_mul_f32_e32 v29, 0x3ee437d1, v25
	v_mov_b32_e32 v61, v29
	v_fma_f32 v26, v24, s1, -v26
	v_fmac_f32_e32 v29, 0xbf65296c, v20
	v_add_f32_e32 v26, v26, v28
	v_add_f32_e32 v28, v29, v30
	v_mul_f32_e32 v29, 0xbf4c4adb, v21
	v_mov_b32_e32 v30, v29
	v_fmac_f32_e32 v30, 0xbf1a4643, v24
	v_fmac_f32_e32 v61, 0x3f65296c, v20
	v_add_f32_e32 v30, v30, v57
	v_mul_f32_e32 v57, 0xbf1a4643, v25
	v_add_f32_e32 v31, v61, v31
	v_mov_b32_e32 v61, v57
	v_fmac_f32_e32 v61, 0x3f4c4adb, v20
	v_fma_f32 v29, v24, s13, -v29
	v_fmac_f32_e32 v57, 0xbf4c4adb, v20
	v_add_f32_e32 v60, v61, v60
	v_add_f32_e32 v29, v29, v56
	;; [unrolled: 1-line block ×3, first 2 shown]
	v_mul_f32_e32 v57, 0x3e3c28d5, v21
	v_mul_f32_e32 v61, 0xbf7ba420, v25
	v_mov_b32_e32 v58, v57
	v_mov_b32_e32 v62, v61
	v_fma_f32 v57, v24, s15, -v57
	v_fmac_f32_e32 v61, 0x3e3c28d5, v20
	v_fmac_f32_e32 v58, 0xbf7ba420, v24
	v_add_f32_e32 v57, v57, v59
	v_add_f32_e32 v59, v61, v66
	v_mul_f32_e32 v61, 0x3f763a35, v21
	v_add_f32_e32 v58, v58, v65
	v_mov_b32_e32 v65, v61
	v_fma_f32 v61, v24, s7, -v61
	v_fmac_f32_e32 v65, 0xbe8c1d8e, v24
	v_add_f32_e32 v61, v61, v70
	v_mul_f32_e32 v70, 0x3f2c7751, v21
	v_fmac_f32_e32 v62, 0xbe3c28d5, v20
	v_add_f32_e32 v65, v65, v71
	v_mul_f32_e32 v66, 0xbe8c1d8e, v25
	v_mov_b32_e32 v71, v70
	v_fma_f32 v70, v24, s6, -v70
	v_add_f32_e32 v62, v62, v67
	v_mov_b32_e32 v67, v66
	v_fmac_f32_e32 v66, 0x3f763a35, v20
	v_fmac_f32_e32 v71, 0x3f3d2fb0, v24
	v_add_f32_e32 v70, v70, v76
	v_mul_f32_e32 v76, 0xbeb8f4ab, v21
	v_fmac_f32_e32 v67, 0xbf763a35, v20
	v_add_f32_e32 v66, v66, v74
	v_add_f32_e32 v71, v71, v77
	v_mul_f32_e32 v74, 0x3f3d2fb0, v25
	v_mov_b32_e32 v77, v76
	v_fma_f32 v76, v24, s12, -v76
	v_add_f32_e32 v67, v67, v75
	v_mov_b32_e32 v75, v74
	v_fmac_f32_e32 v74, 0x3f2c7751, v20
	v_fmac_f32_e32 v77, 0x3f6eb680, v24
	v_add_f32_e32 v76, v76, v80
	v_mul_f32_e32 v80, 0xbf7ee86f, v21
	v_fmac_f32_e32 v75, 0xbf2c7751, v20
	v_add_f32_e32 v74, v74, v78
	v_add_f32_e32 v77, v77, v81
	v_mul_f32_e32 v78, 0x3f6eb680, v25
	v_mov_b32_e32 v81, v80
	v_fma_f32 v80, v24, s0, -v80
	v_mul_f32_e32 v21, 0xbf06c442, v21
	v_add_f32_e32 v75, v75, v79
	v_mov_b32_e32 v79, v78
	v_fmac_f32_e32 v78, 0xbeb8f4ab, v20
	v_add_f32_e32 v80, v80, v119
	v_mov_b32_e32 v119, v21
	v_fma_f32 v21, v24, s14, -v21
	v_fmac_f32_e32 v79, 0x3eb8f4ab, v20
	v_add_f32_e32 v78, v78, v82
	v_fmac_f32_e32 v81, 0x3dbcf732, v24
	v_mul_f32_e32 v82, 0x3dbcf732, v25
	v_mul_f32_e32 v25, 0xbf59a7d5, v25
	v_add_f32_e32 v21, v21, v23
	v_add_f32_e32 v23, v64, v19
	v_sub_f32_e32 v19, v64, v19
	v_add_f32_e32 v79, v79, v83
	v_add_f32_e32 v81, v81, v120
	v_mov_b32_e32 v83, v82
	v_fmac_f32_e32 v119, 0xbf59a7d5, v24
	v_mov_b32_e32 v120, v25
	v_fmac_f32_e32 v25, 0xbf06c442, v20
	v_mul_f32_e32 v24, 0xbf7ee86f, v19
	v_fmac_f32_e32 v83, 0x3f7ee86f, v20
	v_fmac_f32_e32 v82, 0xbf7ee86f, v20
	;; [unrolled: 1-line block ×3, first 2 shown]
	v_add_f32_e32 v20, v25, v22
	v_add_f32_e32 v22, v63, v18
	v_mov_b32_e32 v25, v24
	v_fmac_f32_e32 v25, 0x3dbcf732, v22
	v_sub_f32_e32 v18, v63, v18
	v_add_f32_e32 v25, v25, v27
	v_mul_f32_e32 v27, 0x3dbcf732, v23
	v_mov_b32_e32 v63, v27
	v_fma_f32 v24, v22, s0, -v24
	v_fmac_f32_e32 v27, 0xbf7ee86f, v18
	v_add_f32_e32 v24, v24, v26
	v_add_f32_e32 v26, v27, v28
	v_mul_f32_e32 v27, 0xbe3c28d5, v19
	v_mov_b32_e32 v28, v27
	v_fmac_f32_e32 v28, 0xbf7ba420, v22
	v_fmac_f32_e32 v63, 0x3f7ee86f, v18
	v_add_f32_e32 v28, v28, v30
	v_mul_f32_e32 v30, 0xbf7ba420, v23
	v_add_f32_e32 v31, v63, v31
	v_mov_b32_e32 v63, v30
	v_fma_f32 v27, v22, s15, -v27
	v_fmac_f32_e32 v30, 0xbe3c28d5, v18
	v_add_f32_e32 v27, v27, v29
	v_add_f32_e32 v29, v30, v56
	v_mul_f32_e32 v30, 0x3f763a35, v19
	v_mov_b32_e32 v56, v30
	v_fmac_f32_e32 v56, 0xbe8c1d8e, v22
	v_fmac_f32_e32 v63, 0x3e3c28d5, v18
	v_add_f32_e32 v56, v56, v58
	v_mul_f32_e32 v58, 0xbe8c1d8e, v23
	v_add_f32_e32 v60, v63, v60
	v_mov_b32_e32 v63, v58
	v_fmac_f32_e32 v63, 0xbf763a35, v18
	v_fma_f32 v30, v22, s7, -v30
	v_fmac_f32_e32 v58, 0x3f763a35, v18
	v_add_f32_e32 v62, v63, v62
	v_add_f32_e32 v30, v30, v57
	;; [unrolled: 1-line block ×3, first 2 shown]
	v_mul_f32_e32 v58, 0x3eb8f4ab, v19
	v_mul_f32_e32 v63, 0x3f6eb680, v23
	v_mov_b32_e32 v59, v58
	v_mov_b32_e32 v64, v63
	v_fma_f32 v58, v22, s12, -v58
	v_fmac_f32_e32 v63, 0x3eb8f4ab, v18
	v_fmac_f32_e32 v59, 0x3f6eb680, v22
	v_add_f32_e32 v58, v58, v61
	v_add_f32_e32 v61, v63, v66
	v_mul_f32_e32 v63, 0xbf65296c, v19
	v_add_f32_e32 v59, v59, v65
	v_mov_b32_e32 v65, v63
	v_fma_f32 v63, v22, s1, -v63
	v_fmac_f32_e32 v64, 0xbeb8f4ab, v18
	v_fmac_f32_e32 v65, 0x3ee437d1, v22
	v_mul_f32_e32 v66, 0x3ee437d1, v23
	v_add_f32_e32 v63, v63, v70
	v_mul_f32_e32 v70, 0xbf06c442, v19
	v_add_f32_e32 v64, v64, v67
	v_add_f32_e32 v65, v65, v71
	v_mov_b32_e32 v67, v66
	v_fmac_f32_e32 v66, 0xbf65296c, v18
	v_mov_b32_e32 v71, v70
	v_fma_f32 v70, v22, s14, -v70
	v_fmac_f32_e32 v67, 0x3f65296c, v18
	v_add_f32_e32 v66, v66, v74
	v_fmac_f32_e32 v71, 0xbf59a7d5, v22
	v_mul_f32_e32 v74, 0xbf59a7d5, v23
	v_add_f32_e32 v70, v70, v76
	v_mul_f32_e32 v76, 0x3f4c4adb, v19
	v_add_f32_e32 v67, v67, v75
	v_add_f32_e32 v71, v71, v77
	v_mov_b32_e32 v75, v74
	v_fmac_f32_e32 v74, 0xbf06c442, v18
	v_mov_b32_e32 v77, v76
	v_fma_f32 v76, v22, s13, -v76
	v_mul_f32_e32 v19, 0x3f2c7751, v19
	v_fmac_f32_e32 v75, 0x3f06c442, v18
	v_add_f32_e32 v74, v74, v78
	v_fmac_f32_e32 v77, 0xbf1a4643, v22
	v_mul_f32_e32 v78, 0xbf1a4643, v23
	v_add_f32_e32 v76, v76, v80
	v_mov_b32_e32 v80, v19
	v_mul_f32_e32 v23, 0x3f3d2fb0, v23
	v_fma_f32 v19, v22, s6, -v19
	v_add_f32_e32 v75, v75, v79
	v_add_f32_e32 v77, v77, v81
	v_mov_b32_e32 v79, v78
	v_mov_b32_e32 v81, v23
	v_add_f32_e32 v19, v19, v21
	v_fmac_f32_e32 v23, 0x3f2c7751, v18
	v_add_f32_e32 v21, v15, v17
	v_sub_f32_e32 v15, v15, v17
	v_fmac_f32_e32 v79, 0xbf4c4adb, v18
	v_fmac_f32_e32 v78, 0x3f4c4adb, v18
	;; [unrolled: 1-line block ×3, first 2 shown]
	v_add_f32_e32 v18, v23, v20
	v_add_f32_e32 v20, v14, v16
	v_sub_f32_e32 v14, v14, v16
	v_mul_f32_e32 v16, 0xbf763a35, v15
	v_mov_b32_e32 v17, v16
	v_fma_f32 v16, v20, s7, -v16
	v_fmac_f32_e32 v80, 0x3f3d2fb0, v22
	v_fmac_f32_e32 v17, 0xbe8c1d8e, v20
	v_mul_f32_e32 v22, 0xbe8c1d8e, v21
	v_add_f32_e32 v16, v16, v24
	v_mul_f32_e32 v24, 0x3f06c442, v15
	v_add_f32_e32 v17, v17, v25
	v_mov_b32_e32 v23, v22
	v_fmac_f32_e32 v22, 0xbf763a35, v14
	v_mov_b32_e32 v25, v24
	v_add_f32_e32 v22, v22, v26
	v_fmac_f32_e32 v25, 0xbf59a7d5, v20
	v_mul_f32_e32 v26, 0xbf59a7d5, v21
	v_fma_f32 v24, v20, s14, -v24
	v_add_f32_e32 v25, v25, v28
	v_mov_b32_e32 v28, v26
	v_add_f32_e32 v24, v24, v27
	v_fmac_f32_e32 v26, 0x3f06c442, v14
	v_mul_f32_e32 v27, 0x3f2c7751, v15
	v_fmac_f32_e32 v23, 0x3f763a35, v14
	v_add_f32_e32 v26, v26, v29
	v_mov_b32_e32 v29, v27
	v_add_f32_e32 v23, v23, v31
	v_fmac_f32_e32 v29, 0x3f3d2fb0, v20
	v_mul_f32_e32 v31, 0x3f3d2fb0, v21
	v_add_f32_e32 v29, v29, v56
	v_mov_b32_e32 v56, v31
	v_fma_f32 v27, v20, s6, -v27
	v_fmac_f32_e32 v31, 0x3f2c7751, v14
	v_add_f32_e32 v27, v27, v30
	v_add_f32_e32 v30, v31, v57
	v_mul_f32_e32 v31, 0xbf65296c, v15
	v_mov_b32_e32 v57, v31
	v_fmac_f32_e32 v57, 0x3ee437d1, v20
	v_fmac_f32_e32 v28, 0xbf06c442, v14
	v_add_f32_e32 v57, v57, v59
	v_mul_f32_e32 v59, 0x3ee437d1, v21
	v_add_f32_e32 v28, v28, v60
	v_mov_b32_e32 v60, v59
	v_fma_f32 v31, v20, s1, -v31
	v_fmac_f32_e32 v59, 0xbf65296c, v14
	v_add_f32_e32 v31, v31, v58
	v_add_f32_e32 v58, v59, v61
	v_mul_f32_e32 v59, 0xbe3c28d5, v15
	v_fmac_f32_e32 v56, 0xbf2c7751, v14
	v_mov_b32_e32 v61, v59
	v_fma_f32 v59, v20, s15, -v59
	v_add_f32_e32 v56, v56, v62
	v_fmac_f32_e32 v60, 0x3f65296c, v14
	v_fmac_f32_e32 v61, 0xbf7ba420, v20
	v_mul_f32_e32 v62, 0xbf7ba420, v21
	v_add_f32_e32 v59, v59, v63
	v_mul_f32_e32 v63, 0x3f7ee86f, v15
	v_add_f32_e32 v60, v60, v64
	v_add_f32_e32 v61, v61, v65
	v_mov_b32_e32 v64, v62
	v_fmac_f32_e32 v62, 0xbe3c28d5, v14
	v_mov_b32_e32 v65, v63
	v_fma_f32 v63, v20, s0, -v63
	v_fmac_f32_e32 v64, 0x3e3c28d5, v14
	v_add_f32_e32 v62, v62, v66
	v_fmac_f32_e32 v65, 0x3dbcf732, v20
	v_mul_f32_e32 v66, 0x3dbcf732, v21
	v_add_f32_e32 v63, v63, v70
	v_mul_f32_e32 v70, 0xbeb8f4ab, v15
	v_add_f32_e32 v64, v64, v67
	v_add_f32_e32 v65, v65, v71
	v_mov_b32_e32 v67, v66
	v_fmac_f32_e32 v66, 0x3f7ee86f, v14
	v_mov_b32_e32 v71, v70
	v_fma_f32 v70, v20, s12, -v70
	v_mul_f32_e32 v15, 0xbf4c4adb, v15
	v_fmac_f32_e32 v67, 0xbf7ee86f, v14
	v_add_f32_e32 v66, v66, v74
	v_fmac_f32_e32 v71, 0x3f6eb680, v20
	v_mul_f32_e32 v74, 0x3f6eb680, v21
	v_add_f32_e32 v70, v70, v76
	v_mov_b32_e32 v76, v15
	v_mul_f32_e32 v21, 0xbf1a4643, v21
	v_fma_f32 v15, v20, s13, -v15
	v_add_f32_e32 v67, v67, v75
	v_add_f32_e32 v71, v71, v77
	v_mov_b32_e32 v75, v74
	v_mov_b32_e32 v77, v21
	v_add_f32_e32 v15, v15, v19
	v_fmac_f32_e32 v21, 0xbf4c4adb, v14
	v_add_f32_e32 v19, v11, v13
	v_sub_f32_e32 v11, v11, v13
	v_fmac_f32_e32 v75, 0x3eb8f4ab, v14
	v_fmac_f32_e32 v74, 0xbeb8f4ab, v14
	;; [unrolled: 1-line block ×3, first 2 shown]
	v_add_f32_e32 v14, v21, v18
	v_add_f32_e32 v18, v10, v12
	v_sub_f32_e32 v10, v10, v12
	v_mul_f32_e32 v12, 0xbf4c4adb, v11
	v_mov_b32_e32 v13, v12
	v_fmac_f32_e32 v13, 0xbf1a4643, v18
	v_add_f32_e32 v13, v13, v17
	v_mul_f32_e32 v17, 0xbf1a4643, v19
	v_fmac_f32_e32 v76, 0xbf1a4643, v20
	v_mov_b32_e32 v20, v17
	v_fma_f32 v12, v18, s13, -v12
	v_fmac_f32_e32 v17, 0xbf4c4adb, v10
	v_add_f32_e32 v12, v12, v16
	v_add_f32_e32 v16, v17, v22
	v_mul_f32_e32 v17, 0x3f763a35, v11
	v_mov_b32_e32 v21, v17
	v_fma_f32 v17, v18, s7, -v17
	v_fmac_f32_e32 v20, 0x3f4c4adb, v10
	v_fmac_f32_e32 v21, 0xbe8c1d8e, v18
	v_mul_f32_e32 v22, 0xbe8c1d8e, v19
	v_add_f32_e32 v17, v17, v24
	v_mul_f32_e32 v24, 0xbeb8f4ab, v11
	v_add_f32_e32 v20, v20, v23
	v_add_f32_e32 v21, v21, v25
	v_mov_b32_e32 v23, v22
	v_fmac_f32_e32 v22, 0x3f763a35, v10
	v_mov_b32_e32 v25, v24
	v_fma_f32 v24, v18, s12, -v24
	v_fmac_f32_e32 v23, 0xbf763a35, v10
	v_add_f32_e32 v22, v22, v26
	v_fmac_f32_e32 v25, 0x3f6eb680, v18
	v_mul_f32_e32 v26, 0x3f6eb680, v19
	v_add_f32_e32 v24, v24, v27
	v_mul_f32_e32 v27, 0xbf06c442, v11
	v_add_f32_e32 v23, v23, v28
	v_add_f32_e32 v25, v25, v29
	v_mov_b32_e32 v28, v26
	v_fmac_f32_e32 v26, 0xbeb8f4ab, v10
	v_mov_b32_e32 v29, v27
	v_fma_f32 v27, v18, s14, -v27
	v_fmac_f32_e32 v28, 0x3eb8f4ab, v10
	v_add_f32_e32 v26, v26, v30
	v_fmac_f32_e32 v29, 0xbf59a7d5, v18
	v_mul_f32_e32 v30, 0xbf59a7d5, v19
	v_add_f32_e32 v27, v27, v31
	v_mul_f32_e32 v31, 0x3f7ee86f, v11
	v_add_f32_e32 v28, v28, v56
	v_add_f32_e32 v29, v29, v57
	v_mov_b32_e32 v56, v30
	v_fmac_f32_e32 v30, 0xbf06c442, v10
	v_mov_b32_e32 v57, v31
	v_fma_f32 v31, v18, s0, -v31
	v_fmac_f32_e32 v56, 0x3f06c442, v10
	v_add_f32_e32 v30, v30, v58
	v_fmac_f32_e32 v57, 0x3dbcf732, v18
	v_mul_f32_e32 v58, 0x3dbcf732, v19
	v_add_f32_e32 v31, v31, v59
	v_mul_f32_e32 v59, 0xbf2c7751, v11
	v_add_f32_e32 v56, v56, v60
	v_add_f32_e32 v57, v57, v61
	v_mov_b32_e32 v60, v58
	v_fmac_f32_e32 v58, 0x3f7ee86f, v10
	v_mov_b32_e32 v61, v59
	v_fma_f32 v59, v18, s6, -v59
	v_fmac_f32_e32 v60, 0xbf7ee86f, v10
	v_add_f32_e32 v58, v58, v62
	v_fmac_f32_e32 v61, 0x3f3d2fb0, v18
	v_mul_f32_e32 v62, 0x3f3d2fb0, v19
	v_add_f32_e32 v59, v59, v63
	v_mul_f32_e32 v63, 0xbe3c28d5, v11
	v_add_f32_e32 v60, v60, v64
	v_add_f32_e32 v61, v61, v65
	v_mov_b32_e32 v64, v62
	v_fmac_f32_e32 v62, 0xbf2c7751, v10
	v_mov_b32_e32 v65, v63
	v_fma_f32 v63, v18, s15, -v63
	v_mul_f32_e32 v11, 0x3f65296c, v11
	v_fmac_f32_e32 v64, 0x3f2c7751, v10
	v_add_f32_e32 v62, v62, v66
	v_fmac_f32_e32 v65, 0xbf7ba420, v18
	v_mul_f32_e32 v66, 0xbf7ba420, v19
	v_add_f32_e32 v63, v63, v70
	v_mov_b32_e32 v70, v11
	v_mul_f32_e32 v19, 0x3ee437d1, v19
	v_fma_f32 v11, v18, s1, -v11
	v_add_f32_e32 v64, v64, v67
	v_add_f32_e32 v65, v65, v71
	v_mov_b32_e32 v67, v66
	v_mov_b32_e32 v71, v19
	v_add_f32_e32 v11, v11, v15
	v_fmac_f32_e32 v19, 0x3f65296c, v10
	v_add_f32_e32 v15, v7, v9
	v_sub_f32_e32 v7, v7, v9
	v_fmac_f32_e32 v67, 0x3e3c28d5, v10
	v_fmac_f32_e32 v66, 0xbe3c28d5, v10
	;; [unrolled: 1-line block ×3, first 2 shown]
	v_add_f32_e32 v10, v19, v14
	v_add_f32_e32 v14, v6, v8
	v_sub_f32_e32 v6, v6, v8
	v_mul_f32_e32 v8, 0xbf06c442, v7
	v_mov_b32_e32 v9, v8
	v_fmac_f32_e32 v9, 0xbf59a7d5, v14
	v_add_f32_e32 v9, v9, v13
	v_mul_f32_e32 v13, 0xbf59a7d5, v15
	v_fmac_f32_e32 v70, 0x3ee437d1, v18
	v_mov_b32_e32 v18, v13
	v_fma_f32 v8, v14, s14, -v8
	v_fmac_f32_e32 v13, 0xbf06c442, v6
	v_fmac_f32_e32 v18, 0x3f06c442, v6
	v_add_f32_e32 v8, v8, v12
	v_add_f32_e32 v12, v13, v16
	v_mul_f32_e32 v13, 0x3f65296c, v7
	v_mul_f32_e32 v19, 0x3ee437d1, v15
	v_add_f32_e32 v18, v18, v20
	v_mov_b32_e32 v16, v13
	v_mov_b32_e32 v20, v19
	v_fma_f32 v13, v14, s1, -v13
	v_fmac_f32_e32 v19, 0x3f65296c, v6
	v_fmac_f32_e32 v16, 0x3ee437d1, v14
	;; [unrolled: 1-line block ×3, first 2 shown]
	v_add_f32_e32 v13, v13, v17
	v_add_f32_e32 v17, v19, v22
	v_mul_f32_e32 v19, 0xbf7ee86f, v7
	v_mul_f32_e32 v22, 0x3dbcf732, v15
	v_add_f32_e32 v16, v16, v21
	v_add_f32_e32 v20, v20, v23
	v_mov_b32_e32 v21, v19
	v_mov_b32_e32 v23, v22
	v_fma_f32 v19, v14, s0, -v19
	v_fmac_f32_e32 v22, 0xbf7ee86f, v6
	v_fmac_f32_e32 v21, 0x3dbcf732, v14
	;; [unrolled: 1-line block ×3, first 2 shown]
	v_add_f32_e32 v19, v19, v24
	v_add_f32_e32 v22, v22, v26
	v_mul_f32_e32 v24, 0x3f4c4adb, v7
	v_mul_f32_e32 v26, 0xbf1a4643, v15
	v_add_f32_e32 v21, v21, v25
	v_add_f32_e32 v23, v23, v28
	v_mov_b32_e32 v25, v24
	v_mov_b32_e32 v28, v26
	v_fma_f32 v24, v14, s13, -v24
	v_fmac_f32_e32 v28, 0xbf4c4adb, v6
	v_add_f32_e32 v24, v24, v27
	v_mul_f32_e32 v27, 0xbeb8f4ab, v7
	v_add_f32_e32 v56, v28, v56
	v_mov_b32_e32 v28, v27
	v_fmac_f32_e32 v28, 0x3f6eb680, v14
	v_fmac_f32_e32 v25, 0xbf1a4643, v14
	v_add_f32_e32 v57, v28, v57
	v_mul_f32_e32 v28, 0x3f6eb680, v15
	v_add_f32_e32 v25, v25, v29
	v_mov_b32_e32 v29, v28
	v_fmac_f32_e32 v28, 0xbeb8f4ab, v6
	;; [unrolled: 6-line block ×3, first 2 shown]
	v_add_f32_e32 v123, v123, v129
	v_fmac_f32_e32 v26, 0x3f4c4adb, v6
	v_add_f32_e32 v61, v29, v61
	v_mul_f32_e32 v29, 0xbf7ba420, v15
	v_fma_f32 v28, v14, s15, -v28
	v_add_f32_e32 v122, v122, v126
	v_add_f32_e32 v119, v119, v123
	;; [unrolled: 1-line block ×3, first 2 shown]
	v_mov_b32_e32 v30, v29
	v_add_f32_e32 v59, v28, v59
	v_fmac_f32_e32 v29, 0xbe3c28d5, v6
	v_mul_f32_e32 v28, 0x3f2c7751, v7
	v_add_f32_e32 v121, v121, v125
	v_add_f32_e32 v124, v124, v130
	v_add_f32_e32 v83, v83, v122
	v_add_f32_e32 v80, v80, v119
	v_add_f32_e32 v62, v29, v62
	v_mov_b32_e32 v29, v28
	v_fma_f32 v28, v14, s6, -v28
	v_mul_f32_e32 v7, 0xbf763a35, v7
	v_add_f32_e32 v82, v82, v121
	v_add_f32_e32 v120, v120, v124
	;; [unrolled: 1-line block ×4, first 2 shown]
	v_fmac_f32_e32 v29, 0x3f3d2fb0, v14
	v_add_f32_e32 v63, v28, v63
	v_mov_b32_e32 v28, v7
	v_add_f32_e32 v78, v78, v82
	v_add_f32_e32 v81, v81, v120
	;; [unrolled: 1-line block ×4, first 2 shown]
	v_fmac_f32_e32 v30, 0x3e3c28d5, v6
	v_add_f32_e32 v65, v29, v65
	v_mul_f32_e32 v29, 0x3f3d2fb0, v15
	v_fmac_f32_e32 v28, 0xbe8c1d8e, v14
	v_mul_f32_e32 v15, 0xbe8c1d8e, v15
	v_sub_f32_e32 v79, v2, v5
	v_add_f32_e32 v74, v74, v78
	v_add_f32_e32 v77, v77, v81
	;; [unrolled: 1-line block ×3, first 2 shown]
	v_mov_b32_e32 v30, v29
	v_add_f32_e32 v70, v28, v70
	v_mov_b32_e32 v28, v15
	v_add_f32_e32 v76, v4, v3
	v_sub_f32_e32 v78, v4, v3
	v_mul_f32_e32 v4, 0xbe3c28d5, v79
	v_add_f32_e32 v67, v67, v75
	v_add_f32_e32 v71, v71, v77
	v_fmac_f32_e32 v30, 0xbf2c7751, v6
	v_fmac_f32_e32 v29, 0x3f2c7751, v6
	;; [unrolled: 1-line block ×4, first 2 shown]
	v_add_f32_e32 v77, v2, v5
	v_mov_b32_e32 v2, v4
	v_fma_f32 v4, v76, s15, -v4
	v_mul_f32_e32 v6, 0x3eb8f4ab, v79
	v_add_f32_e32 v67, v30, v67
	v_mul_f32_e32 v5, 0xbf7ba420, v77
	v_add_f32_e32 v30, v4, v8
	v_mov_b32_e32 v4, v6
	v_fma_f32 v27, v14, s12, -v27
	v_fma_f32 v7, v14, s7, -v7
	v_mov_b32_e32 v3, v5
	v_fmac_f32_e32 v5, 0xbe3c28d5, v78
	v_fmac_f32_e32 v4, 0x3f6eb680, v76
	v_fma_f32 v6, v76, s12, -v6
	v_add_f32_e32 v66, v66, v74
	v_add_f32_e32 v27, v27, v31
	;; [unrolled: 1-line block ×4, first 2 shown]
	v_fmac_f32_e32 v2, 0xbf7ba420, v76
	v_add_f32_e32 v31, v5, v12
	v_add_f32_e32 v4, v4, v16
	v_mul_f32_e32 v7, 0x3f6eb680, v77
	v_add_f32_e32 v28, v6, v13
	v_mul_f32_e32 v8, 0xbf06c442, v79
	v_mul_f32_e32 v12, 0x3f2c7751, v79
	v_mul_f32_e32 v13, 0x3f3d2fb0, v77
	v_mul_f32_e32 v16, 0xbf4c4adb, v79
	v_add_f32_e32 v75, v15, v10
	v_add_f32_e32 v2, v2, v9
	v_mov_b32_e32 v5, v7
	v_fmac_f32_e32 v7, 0x3eb8f4ab, v78
	v_mov_b32_e32 v6, v8
	v_mul_f32_e32 v9, 0xbf59a7d5, v77
	v_mov_b32_e32 v10, v12
	v_mov_b32_e32 v11, v13
	;; [unrolled: 1-line block ×3, first 2 shown]
	v_add_f32_e32 v66, v29, v66
	v_fmac_f32_e32 v5, 0xbeb8f4ab, v78
	v_add_f32_e32 v29, v7, v17
	v_fmac_f32_e32 v6, 0xbf59a7d5, v76
	v_mov_b32_e32 v7, v9
	v_fmac_f32_e32 v10, 0x3f3d2fb0, v76
	v_fmac_f32_e32 v11, 0xbf2c7751, v78
	v_fma_f32 v12, v76, s6, -v12
	v_fmac_f32_e32 v14, 0xbf1a4643, v76
	v_fmac_f32_e32 v3, 0x3e3c28d5, v78
	v_add_f32_e32 v5, v5, v20
	v_add_f32_e32 v6, v6, v21
	v_fmac_f32_e32 v7, 0x3f06c442, v78
	v_fma_f32 v8, v76, s14, -v8
	v_fmac_f32_e32 v9, 0xbf06c442, v78
	v_add_f32_e32 v10, v10, v25
	v_add_f32_e32 v11, v11, v56
	;; [unrolled: 1-line block ×3, first 2 shown]
	v_fmac_f32_e32 v13, 0x3f2c7751, v78
	v_add_f32_e32 v14, v14, v57
	v_mul_f32_e32 v17, 0xbf1a4643, v77
	v_fma_f32 v16, v76, s13, -v16
	v_mul_f32_e32 v20, 0x3f65296c, v79
	v_mul_f32_e32 v21, 0x3ee437d1, v77
	;; [unrolled: 1-line block ×6, first 2 shown]
	v_add_f32_e32 v3, v3, v18
	v_add_f32_e32 v7, v7, v23
	;; [unrolled: 1-line block ×5, first 2 shown]
	v_mov_b32_e32 v15, v17
	v_add_f32_e32 v16, v16, v27
	v_mov_b32_e32 v18, v20
	v_mov_b32_e32 v19, v21
	v_mov_b32_e32 v22, v24
	v_mov_b32_e32 v23, v25
	v_mov_b32_e32 v26, v56
	v_mov_b32_e32 v27, v57
	v_fmac_f32_e32 v15, 0x3f4c4adb, v78
	v_fmac_f32_e32 v17, 0xbf4c4adb, v78
	;; [unrolled: 1-line block ×4, first 2 shown]
	v_fma_f32 v20, v76, s1, -v20
	v_fmac_f32_e32 v21, 0x3f65296c, v78
	v_fmac_f32_e32 v22, 0xbe8c1d8e, v76
	;; [unrolled: 1-line block ×3, first 2 shown]
	v_fma_f32 v24, v76, s7, -v24
	v_fmac_f32_e32 v25, 0xbf763a35, v78
	v_fmac_f32_e32 v26, 0x3dbcf732, v76
	;; [unrolled: 1-line block ×3, first 2 shown]
	v_fma_f32 v56, v76, s0, -v56
	v_fmac_f32_e32 v57, 0x3f7ee86f, v78
	v_add_f32_e32 v15, v15, v60
	v_add_f32_e32 v17, v17, v58
	;; [unrolled: 1-line block ×14, first 2 shown]
	s_waitcnt lgkmcnt(0)
	; wave barrier
	ds_write2_b64 v133, v[0:1], v[2:3] offset1:17
	ds_write2_b64 v133, v[4:5], v[6:7] offset0:34 offset1:51
	ds_write2_b64 v133, v[10:11], v[14:15] offset0:68 offset1:85
	;; [unrolled: 1-line block ×7, first 2 shown]
	ds_write_b64 v133, v[30:31] offset:2176
	v_add_u32_e32 v0, 0x400, v127
	s_waitcnt lgkmcnt(0)
	; wave barrier
	s_waitcnt lgkmcnt(0)
	ds_read2_b64 v[4:7], v127 offset1:51
	ds_read2_b64 v[0:3], v0 offset0:76 offset1:161
	ds_read2_b64 v[24:27], v73 offset0:66 offset1:117
	;; [unrolled: 1-line block ×6, first 2 shown]
	ds_read_b64 v[56:57], v127 offset:6256
	s_and_saveexec_b64 s[0:1], s[2:3]
	s_cbranch_execz .LBB0_7
; %bb.6:
	ds_read_b64 v[28:29], v127 offset:2040
	ds_read_b64 v[30:31], v127 offset:4352
	;; [unrolled: 1-line block ×3, first 2 shown]
.LBB0_7:
	s_or_b64 exec, exec, s[0:1]
	s_waitcnt lgkmcnt(6)
	v_mul_f32_e32 v58, v37, v3
	v_fmac_f32_e32 v58, v36, v2
	v_mul_f32_e32 v2, v37, v2
	v_fma_f32 v36, v36, v3, -v2
	s_waitcnt lgkmcnt(5)
	v_mul_f32_e32 v37, v39, v25
	v_mul_f32_e32 v2, v39, v24
	v_fmac_f32_e32 v37, v38, v24
	v_fma_f32 v24, v38, v25, -v2
	s_waitcnt lgkmcnt(4)
	v_mul_f32_e32 v25, v41, v21
	v_mul_f32_e32 v2, v41, v20
	v_fmac_f32_e32 v25, v40, v20
	v_fma_f32 v20, v40, v21, -v2
	v_mul_f32_e32 v21, v43, v27
	v_mul_f32_e32 v2, v43, v26
	v_fmac_f32_e32 v21, v42, v26
	v_fma_f32 v26, v42, v27, -v2
	;; [unrolled: 4-line block ×3, first 2 shown]
	s_waitcnt lgkmcnt(2)
	v_mul_f32_e32 v2, v47, v16
	v_fma_f32 v38, v46, v17, -v2
	s_waitcnt lgkmcnt(1)
	v_mul_f32_e32 v2, v49, v12
	v_fma_f32 v40, v48, v13, -v2
	v_mul_f32_e32 v2, v51, v18
	v_fma_f32 v42, v50, v19, -v2
	v_mul_f32_e32 v2, v53, v14
	v_mul_f32_e32 v23, v47, v17
	v_fma_f32 v44, v52, v15, -v2
	s_waitcnt lgkmcnt(0)
	v_mul_f32_e32 v2, v55, v56
	v_add_f32_e32 v3, v58, v37
	v_fmac_f32_e32 v23, v46, v16
	v_mul_f32_e32 v39, v49, v13
	v_fma_f32 v46, v54, v57, -v2
	v_add_f32_e32 v2, v4, v58
	v_fma_f32 v4, -0.5, v3, v4
	v_fmac_f32_e32 v39, v48, v12
	v_sub_f32_e32 v3, v36, v24
	v_mov_b32_e32 v12, v4
	v_add_f32_e32 v13, v36, v24
	v_mul_f32_e32 v43, v53, v15
	v_fmac_f32_e32 v12, 0xbf5db3d7, v3
	v_fmac_f32_e32 v4, 0x3f5db3d7, v3
	v_add_f32_e32 v3, v5, v36
	v_fma_f32 v5, -0.5, v13, v5
	v_fmac_f32_e32 v43, v52, v14
	v_sub_f32_e32 v14, v58, v37
	v_mov_b32_e32 v13, v5
	v_add_f32_e32 v15, v25, v21
	v_fmac_f32_e32 v13, 0x3f5db3d7, v14
	v_fmac_f32_e32 v5, 0xbf5db3d7, v14
	v_add_f32_e32 v14, v6, v25
	v_fma_f32 v6, -0.5, v15, v6
	v_sub_f32_e32 v15, v20, v26
	v_mov_b32_e32 v16, v6
	v_add_f32_e32 v17, v20, v26
	v_mul_f32_e32 v41, v51, v19
	v_fmac_f32_e32 v16, 0xbf5db3d7, v15
	v_fmac_f32_e32 v6, 0x3f5db3d7, v15
	v_add_f32_e32 v15, v7, v20
	v_fmac_f32_e32 v7, -0.5, v17
	v_fmac_f32_e32 v41, v50, v18
	v_sub_f32_e32 v18, v25, v21
	v_mov_b32_e32 v17, v7
	v_add_f32_e32 v19, v27, v23
	v_fmac_f32_e32 v17, 0x3f5db3d7, v18
	v_fmac_f32_e32 v7, 0xbf5db3d7, v18
	v_add_f32_e32 v18, v8, v27
	v_fma_f32 v8, -0.5, v19, v8
	v_add_f32_e32 v14, v14, v21
	v_sub_f32_e32 v19, v22, v38
	v_mov_b32_e32 v20, v8
	v_add_f32_e32 v21, v22, v38
	v_fmac_f32_e32 v20, 0xbf5db3d7, v19
	v_fmac_f32_e32 v8, 0x3f5db3d7, v19
	v_add_f32_e32 v19, v9, v22
	v_fma_f32 v9, -0.5, v21, v9
	v_add_f32_e32 v18, v18, v23
	v_sub_f32_e32 v22, v27, v23
	v_mov_b32_e32 v21, v9
	v_add_f32_e32 v23, v39, v41
	v_fmac_f32_e32 v21, 0x3f5db3d7, v22
	v_fmac_f32_e32 v9, 0xbf5db3d7, v22
	v_add_f32_e32 v22, v10, v39
	v_fma_f32 v10, -0.5, v23, v10
	v_mul_f32_e32 v45, v55, v57
	v_add_f32_e32 v3, v3, v24
	v_sub_f32_e32 v23, v40, v42
	v_mov_b32_e32 v24, v10
	v_add_f32_e32 v25, v40, v42
	v_fmac_f32_e32 v45, v54, v56
	v_fmac_f32_e32 v24, 0xbf5db3d7, v23
	;; [unrolled: 1-line block ×3, first 2 shown]
	v_add_f32_e32 v23, v11, v40
	v_fmac_f32_e32 v11, -0.5, v25
	v_add_f32_e32 v15, v15, v26
	v_sub_f32_e32 v26, v39, v41
	v_mov_b32_e32 v25, v11
	v_add_f32_e32 v27, v43, v45
	v_fmac_f32_e32 v25, 0x3f5db3d7, v26
	v_fmac_f32_e32 v11, 0xbf5db3d7, v26
	v_add_f32_e32 v26, v0, v43
	v_fma_f32 v0, -0.5, v27, v0
	v_add_f32_e32 v2, v2, v37
	v_sub_f32_e32 v27, v44, v46
	v_mov_b32_e32 v36, v0
	v_add_f32_e32 v37, v44, v46
	v_fmac_f32_e32 v36, 0xbf5db3d7, v27
	v_fmac_f32_e32 v0, 0x3f5db3d7, v27
	v_add_f32_e32 v27, v1, v44
	v_fmac_f32_e32 v1, -0.5, v37
	v_add_f32_e32 v19, v19, v38
	v_sub_f32_e32 v38, v43, v45
	v_mov_b32_e32 v37, v1
	v_add_f32_e32 v22, v22, v41
	v_add_f32_e32 v23, v23, v42
	;; [unrolled: 1-line block ×4, first 2 shown]
	v_fmac_f32_e32 v37, 0x3f5db3d7, v38
	v_fmac_f32_e32 v1, 0xbf5db3d7, v38
	ds_write_b64 v127, v[12:13] offset:2312
	ds_write_b64 v127, v[4:5] offset:4624
	ds_write2_b64 v127, v[2:3], v[14:15] offset1:51
	ds_write2_b64 v72, v[16:17], v[20:21] offset0:84 offset1:135
	ds_write2_b64 v73, v[6:7], v[8:9] offset0:117 offset1:168
	ds_write2_b64 v127, v[18:19], v[22:23] offset0:102 offset1:153
	ds_write_b64 v127, v[10:11] offset:5848
	ds_write_b64 v127, v[26:27] offset:1632
	ds_write2_b64 v72, v[24:25], v[36:37] offset0:186 offset1:237
	ds_write_b64 v127, v[0:1] offset:6256
	s_and_saveexec_b64 s[0:1], s[2:3]
	s_cbranch_execz .LBB0_9
; %bb.8:
	v_mul_f32_e32 v0, v33, v30
	v_fma_f32 v2, v32, v31, -v0
	v_mul_f32_e32 v0, v35, v68
	v_fma_f32 v4, v34, v69, -v0
	v_add_f32_e32 v0, v2, v4
	v_mul_f32_e32 v6, v33, v31
	v_mul_f32_e32 v7, v35, v69
	v_fma_f32 v1, -0.5, v0, v29
	v_fmac_f32_e32 v6, v32, v30
	v_fmac_f32_e32 v7, v34, v68
	v_sub_f32_e32 v0, v6, v7
	v_mov_b32_e32 v3, v1
	v_fmac_f32_e32 v3, 0xbf5db3d7, v0
	v_fmac_f32_e32 v1, 0x3f5db3d7, v0
	v_add_f32_e32 v0, v29, v2
	v_add_f32_e32 v5, v0, v4
	;; [unrolled: 1-line block ×3, first 2 shown]
	v_fma_f32 v0, -0.5, v0, v28
	v_sub_f32_e32 v4, v2, v4
	v_mov_b32_e32 v2, v0
	v_fmac_f32_e32 v2, 0x3f5db3d7, v4
	v_fmac_f32_e32 v0, 0xbf5db3d7, v4
	v_add_f32_e32 v4, v28, v6
	v_add_f32_e32 v4, v4, v7
	ds_write_b64 v127, v[4:5] offset:2040
	ds_write_b64 v127, v[0:1] offset:4352
	;; [unrolled: 1-line block ×3, first 2 shown]
.LBB0_9:
	s_or_b64 exec, exec, s[0:1]
	s_waitcnt lgkmcnt(0)
	; wave barrier
	s_waitcnt lgkmcnt(0)
	ds_read2_b64 v[0:3], v127 offset1:51
	v_mad_u64_u32 v[4:5], s[0:1], s10, v102, 0
	s_mov_b32 s0, 0x8b5e3104
	s_mov_b32 s1, 0x3f52e5b8
	s_waitcnt lgkmcnt(0)
	v_mul_f32_e32 v6, v118, v1
	v_fmac_f32_e32 v6, v117, v0
	v_cvt_f64_f32_e32 v[6:7], v6
	v_mul_f32_e32 v0, v118, v0
	v_fma_f32 v0, v117, v1, -v0
	v_cvt_f64_f32_e32 v[0:1], v0
	v_mul_f64 v[6:7], v[6:7], s[0:1]
	v_mad_u64_u32 v[8:9], s[2:3], s8, v128, 0
	v_mul_f64 v[0:1], v[0:1], s[0:1]
	v_add_u32_e32 v13, 0x800, v127
	v_mad_u64_u32 v[10:11], s[2:3], s11, v102, v[5:6]
	v_mov_b32_e32 v5, v9
	v_mad_u64_u32 v[11:12], s[2:3], s9, v128, v[5:6]
	v_mov_b32_e32 v5, v10
	v_cvt_f32_f64_e32 v6, v[6:7]
	v_cvt_f32_f64_e32 v7, v[0:1]
	v_lshlrev_b64 v[0:1], 3, v[4:5]
	v_mul_f32_e32 v4, v116, v3
	v_fmac_f32_e32 v4, v115, v2
	v_mul_f32_e32 v2, v116, v2
	v_fma_f32 v2, v115, v3, -v2
	v_mov_b32_e32 v9, v11
	v_mov_b32_e32 v10, s5
	v_cvt_f64_f32_e32 v[2:3], v2
	v_add_co_u32_e32 v11, vcc, s4, v0
	v_addc_co_u32_e32 v12, vcc, v10, v1, vcc
	v_lshlrev_b64 v[0:1], 3, v[8:9]
	v_mul_f64 v[8:9], v[2:3], s[0:1]
	v_add_co_u32_e32 v10, vcc, v11, v0
	v_addc_co_u32_e32 v11, vcc, v12, v1, vcc
	ds_read2_b64 v[0:3], v127 offset0:102 offset1:153
	v_cvt_f64_f32_e32 v[4:5], v4
	global_store_dwordx2 v[10:11], v[6:7], off
	s_mul_i32 s2, s9, 0x198
	s_mul_hi_u32 s3, s8, 0x198
	s_waitcnt lgkmcnt(0)
	v_mul_f32_e32 v6, v112, v1
	v_fmac_f32_e32 v6, v111, v0
	v_mul_f32_e32 v0, v112, v0
	v_fma_f32 v0, v111, v1, -v0
	v_mul_f64 v[4:5], v[4:5], s[0:1]
	v_cvt_f64_f32_e32 v[0:1], v0
	v_cvt_f64_f32_e32 v[6:7], v6
	s_add_i32 s2, s3, s2
	s_mul_i32 s3, s8, 0x198
	v_mul_f64 v[0:1], v[0:1], s[0:1]
	v_mul_f64 v[6:7], v[6:7], s[0:1]
	v_mov_b32_e32 v12, s2
	v_cvt_f32_f64_e32 v4, v[4:5]
	v_cvt_f32_f64_e32 v5, v[8:9]
	v_mov_b32_e32 v9, s2
	v_add_co_u32_e32 v8, vcc, s3, v10
	v_addc_co_u32_e32 v9, vcc, v11, v9, vcc
	global_store_dwordx2 v[8:9], v[4:5], off
	v_cvt_f32_f64_e32 v5, v[0:1]
	v_mul_f32_e32 v0, v108, v3
	v_fmac_f32_e32 v0, v107, v2
	v_cvt_f32_f64_e32 v4, v[6:7]
	v_cvt_f64_f32_e32 v[6:7], v0
	v_mul_f32_e32 v0, v108, v2
	v_fma_f32 v0, v107, v3, -v0
	v_cvt_f64_f32_e32 v[10:11], v0
	ds_read2_b64 v[0:3], v127 offset0:204 offset1:255
	v_add_co_u32_e32 v8, vcc, s3, v8
	v_addc_co_u32_e32 v9, vcc, v9, v12, vcc
	global_store_dwordx2 v[8:9], v[4:5], off
	v_mul_f64 v[4:5], v[6:7], s[0:1]
	v_mul_f64 v[6:7], v[10:11], s[0:1]
	s_waitcnt lgkmcnt(0)
	v_mul_f32_e32 v10, v114, v1
	v_fmac_f32_e32 v10, v113, v0
	v_mul_f32_e32 v0, v114, v0
	v_fma_f32 v0, v113, v1, -v0
	v_cvt_f64_f32_e32 v[0:1], v0
	v_cvt_f64_f32_e32 v[10:11], v10
	v_cvt_f32_f64_e32 v4, v[4:5]
	v_cvt_f32_f64_e32 v5, v[6:7]
	v_mul_f64 v[0:1], v[0:1], s[0:1]
	v_mul_f64 v[6:7], v[10:11], s[0:1]
	v_mov_b32_e32 v10, s2
	v_add_co_u32_e32 v8, vcc, s3, v8
	v_addc_co_u32_e32 v9, vcc, v9, v10, vcc
	global_store_dwordx2 v[8:9], v[4:5], off
	v_cvt_f32_f64_e32 v5, v[0:1]
	v_mul_f32_e32 v0, v110, v3
	v_fmac_f32_e32 v0, v109, v2
	v_cvt_f32_f64_e32 v4, v[6:7]
	v_cvt_f64_f32_e32 v[6:7], v0
	v_mul_f32_e32 v0, v110, v2
	v_fma_f32 v0, v109, v3, -v0
	v_cvt_f64_f32_e32 v[10:11], v0
	ds_read2_b64 v[0:3], v13 offset0:50 offset1:101
	v_add_co_u32_e32 v8, vcc, s3, v8
	v_addc_co_u32_e32 v9, vcc, v9, v12, vcc
	global_store_dwordx2 v[8:9], v[4:5], off
	v_mul_f64 v[4:5], v[6:7], s[0:1]
	v_mul_f64 v[6:7], v[10:11], s[0:1]
	s_waitcnt lgkmcnt(0)
	v_mul_f32_e32 v10, v106, v1
	v_fmac_f32_e32 v10, v105, v0
	v_mul_f32_e32 v0, v106, v0
	v_fma_f32 v0, v105, v1, -v0
	v_cvt_f64_f32_e32 v[0:1], v0
	v_cvt_f64_f32_e32 v[10:11], v10
	v_cvt_f32_f64_e32 v4, v[4:5]
	v_cvt_f32_f64_e32 v5, v[6:7]
	v_mul_f64 v[0:1], v[0:1], s[0:1]
	v_mul_f64 v[6:7], v[10:11], s[0:1]
	;; [unrolled: 29-line block ×3, first 2 shown]
	v_mov_b32_e32 v10, s2
	v_add_co_u32_e32 v8, vcc, s3, v8
	v_addc_co_u32_e32 v9, vcc, v9, v10, vcc
	global_store_dwordx2 v[8:9], v[4:5], off
	v_cvt_f32_f64_e32 v5, v[0:1]
	v_mul_f32_e32 v0, v99, v3
	v_fmac_f32_e32 v0, v98, v2
	v_cvt_f32_f64_e32 v4, v[6:7]
	v_cvt_f64_f32_e32 v[6:7], v0
	v_mul_f32_e32 v0, v99, v2
	v_fma_f32 v0, v98, v3, -v0
	v_cvt_f64_f32_e32 v[10:11], v0
	v_add_u32_e32 v0, 0xc00, v127
	ds_read2_b64 v[0:3], v0 offset0:126 offset1:177
	v_add_co_u32_e32 v8, vcc, s3, v8
	v_addc_co_u32_e32 v9, vcc, v9, v12, vcc
	global_store_dwordx2 v[8:9], v[4:5], off
	v_mul_f64 v[4:5], v[6:7], s[0:1]
	v_mul_f64 v[6:7], v[10:11], s[0:1]
	s_waitcnt lgkmcnt(0)
	v_mul_f32_e32 v10, v95, v1
	v_fmac_f32_e32 v10, v94, v0
	v_mul_f32_e32 v0, v95, v0
	v_fma_f32 v0, v94, v1, -v0
	v_cvt_f64_f32_e32 v[0:1], v0
	v_cvt_f64_f32_e32 v[10:11], v10
	v_cvt_f32_f64_e32 v4, v[4:5]
	v_cvt_f32_f64_e32 v5, v[6:7]
	v_mul_f64 v[0:1], v[0:1], s[0:1]
	v_mul_f64 v[6:7], v[10:11], s[0:1]
	v_mov_b32_e32 v10, s2
	v_add_co_u32_e32 v8, vcc, s3, v8
	v_addc_co_u32_e32 v9, vcc, v9, v10, vcc
	global_store_dwordx2 v[8:9], v[4:5], off
	v_cvt_f32_f64_e32 v5, v[0:1]
	v_mul_f32_e32 v0, v97, v3
	v_fmac_f32_e32 v0, v96, v2
	v_cvt_f32_f64_e32 v4, v[6:7]
	v_cvt_f64_f32_e32 v[6:7], v0
	v_mul_f32_e32 v0, v97, v2
	v_fma_f32 v0, v96, v3, -v0
	v_add_u32_e32 v13, 0x1000, v127
	v_cvt_f64_f32_e32 v[10:11], v0
	ds_read2_b64 v[0:3], v13 offset0:100 offset1:151
	v_add_co_u32_e32 v8, vcc, s3, v8
	v_addc_co_u32_e32 v9, vcc, v9, v12, vcc
	global_store_dwordx2 v[8:9], v[4:5], off
	v_mul_f64 v[4:5], v[6:7], s[0:1]
	v_mul_f64 v[6:7], v[10:11], s[0:1]
	s_waitcnt lgkmcnt(0)
	v_mul_f32_e32 v10, v91, v1
	v_fmac_f32_e32 v10, v90, v0
	v_mul_f32_e32 v0, v91, v0
	v_fma_f32 v0, v90, v1, -v0
	v_cvt_f64_f32_e32 v[0:1], v0
	v_cvt_f64_f32_e32 v[10:11], v10
	v_cvt_f32_f64_e32 v4, v[4:5]
	v_cvt_f32_f64_e32 v5, v[6:7]
	v_mul_f64 v[0:1], v[0:1], s[0:1]
	v_mul_f64 v[6:7], v[10:11], s[0:1]
	v_mov_b32_e32 v10, s2
	v_add_co_u32_e32 v8, vcc, s3, v8
	v_addc_co_u32_e32 v9, vcc, v9, v10, vcc
	global_store_dwordx2 v[8:9], v[4:5], off
	v_cvt_f32_f64_e32 v5, v[0:1]
	v_mul_f32_e32 v0, v93, v3
	v_fmac_f32_e32 v0, v92, v2
	v_cvt_f32_f64_e32 v4, v[6:7]
	v_cvt_f64_f32_e32 v[6:7], v0
	v_mul_f32_e32 v0, v93, v2
	v_fma_f32 v0, v92, v3, -v0
	v_cvt_f64_f32_e32 v[10:11], v0
	ds_read2_b64 v[0:3], v13 offset0:202 offset1:253
	v_add_co_u32_e32 v8, vcc, s3, v8
	v_addc_co_u32_e32 v9, vcc, v9, v12, vcc
	global_store_dwordx2 v[8:9], v[4:5], off
	v_mul_f64 v[4:5], v[6:7], s[0:1]
	v_mul_f64 v[6:7], v[10:11], s[0:1]
	s_waitcnt lgkmcnt(0)
	v_mul_f32_e32 v10, v89, v1
	v_fmac_f32_e32 v10, v88, v0
	v_mul_f32_e32 v0, v89, v0
	v_fma_f32 v0, v88, v1, -v0
	v_cvt_f64_f32_e32 v[0:1], v0
	v_cvt_f64_f32_e32 v[10:11], v10
	v_cvt_f32_f64_e32 v4, v[4:5]
	v_cvt_f32_f64_e32 v5, v[6:7]
	v_mul_f64 v[0:1], v[0:1], s[0:1]
	v_mul_f64 v[6:7], v[10:11], s[0:1]
	v_mov_b32_e32 v10, s2
	v_add_co_u32_e32 v8, vcc, s3, v8
	v_addc_co_u32_e32 v9, vcc, v9, v10, vcc
	global_store_dwordx2 v[8:9], v[4:5], off
	v_cvt_f32_f64_e32 v5, v[0:1]
	v_mul_f32_e32 v0, v87, v3
	v_fmac_f32_e32 v0, v86, v2
	v_mul_f32_e32 v2, v87, v2
	v_fma_f32 v2, v86, v3, -v2
	v_cvt_f32_f64_e32 v4, v[6:7]
	v_cvt_f64_f32_e32 v[0:1], v0
	v_cvt_f64_f32_e32 v[2:3], v2
	ds_read_b64 v[6:7], v127 offset:6528
	v_add_co_u32_e32 v8, vcc, s3, v8
	v_addc_co_u32_e32 v9, vcc, v9, v10, vcc
	v_mul_f64 v[0:1], v[0:1], s[0:1]
	v_mul_f64 v[2:3], v[2:3], s[0:1]
	global_store_dwordx2 v[8:9], v[4:5], off
	s_waitcnt lgkmcnt(0)
	v_mul_f32_e32 v4, v85, v7
	v_fmac_f32_e32 v4, v84, v6
	v_mul_f32_e32 v6, v85, v6
	v_fma_f32 v6, v84, v7, -v6
	v_cvt_f64_f32_e32 v[4:5], v4
	v_cvt_f64_f32_e32 v[6:7], v6
	v_cvt_f32_f64_e32 v0, v[0:1]
	v_cvt_f32_f64_e32 v1, v[2:3]
	v_mul_f64 v[2:3], v[4:5], s[0:1]
	v_mul_f64 v[4:5], v[6:7], s[0:1]
	v_mov_b32_e32 v7, s2
	v_add_co_u32_e32 v6, vcc, s3, v8
	v_addc_co_u32_e32 v7, vcc, v9, v7, vcc
	global_store_dwordx2 v[6:7], v[0:1], off
	v_cvt_f32_f64_e32 v0, v[2:3]
	v_cvt_f32_f64_e32 v1, v[4:5]
	v_mov_b32_e32 v3, s2
	v_add_co_u32_e32 v2, vcc, s3, v6
	v_addc_co_u32_e32 v3, vcc, v7, v3, vcc
	global_store_dwordx2 v[2:3], v[0:1], off
.LBB0_10:
	s_endpgm
	.section	.rodata,"a",@progbits
	.p2align	6, 0x0
	.amdhsa_kernel bluestein_single_fwd_len867_dim1_sp_op_CI_CI
		.amdhsa_group_segment_fixed_size 6936
		.amdhsa_private_segment_fixed_size 0
		.amdhsa_kernarg_size 104
		.amdhsa_user_sgpr_count 6
		.amdhsa_user_sgpr_private_segment_buffer 1
		.amdhsa_user_sgpr_dispatch_ptr 0
		.amdhsa_user_sgpr_queue_ptr 0
		.amdhsa_user_sgpr_kernarg_segment_ptr 1
		.amdhsa_user_sgpr_dispatch_id 0
		.amdhsa_user_sgpr_flat_scratch_init 0
		.amdhsa_user_sgpr_private_segment_size 0
		.amdhsa_uses_dynamic_stack 0
		.amdhsa_system_sgpr_private_segment_wavefront_offset 0
		.amdhsa_system_sgpr_workgroup_id_x 1
		.amdhsa_system_sgpr_workgroup_id_y 0
		.amdhsa_system_sgpr_workgroup_id_z 0
		.amdhsa_system_sgpr_workgroup_info 0
		.amdhsa_system_vgpr_workitem_id 0
		.amdhsa_next_free_vgpr 223
		.amdhsa_next_free_sgpr 20
		.amdhsa_reserve_vcc 1
		.amdhsa_reserve_flat_scratch 0
		.amdhsa_float_round_mode_32 0
		.amdhsa_float_round_mode_16_64 0
		.amdhsa_float_denorm_mode_32 3
		.amdhsa_float_denorm_mode_16_64 3
		.amdhsa_dx10_clamp 1
		.amdhsa_ieee_mode 1
		.amdhsa_fp16_overflow 0
		.amdhsa_exception_fp_ieee_invalid_op 0
		.amdhsa_exception_fp_denorm_src 0
		.amdhsa_exception_fp_ieee_div_zero 0
		.amdhsa_exception_fp_ieee_overflow 0
		.amdhsa_exception_fp_ieee_underflow 0
		.amdhsa_exception_fp_ieee_inexact 0
		.amdhsa_exception_int_div_zero 0
	.end_amdhsa_kernel
	.text
.Lfunc_end0:
	.size	bluestein_single_fwd_len867_dim1_sp_op_CI_CI, .Lfunc_end0-bluestein_single_fwd_len867_dim1_sp_op_CI_CI
                                        ; -- End function
	.section	.AMDGPU.csdata,"",@progbits
; Kernel info:
; codeLenInByte = 26260
; NumSgprs: 24
; NumVgprs: 223
; ScratchSize: 0
; MemoryBound: 0
; FloatMode: 240
; IeeeMode: 1
; LDSByteSize: 6936 bytes/workgroup (compile time only)
; SGPRBlocks: 2
; VGPRBlocks: 55
; NumSGPRsForWavesPerEU: 24
; NumVGPRsForWavesPerEU: 223
; Occupancy: 1
; WaveLimiterHint : 1
; COMPUTE_PGM_RSRC2:SCRATCH_EN: 0
; COMPUTE_PGM_RSRC2:USER_SGPR: 6
; COMPUTE_PGM_RSRC2:TRAP_HANDLER: 0
; COMPUTE_PGM_RSRC2:TGID_X_EN: 1
; COMPUTE_PGM_RSRC2:TGID_Y_EN: 0
; COMPUTE_PGM_RSRC2:TGID_Z_EN: 0
; COMPUTE_PGM_RSRC2:TIDIG_COMP_CNT: 0
	.type	__hip_cuid_8bec5cbd9bc41901,@object ; @__hip_cuid_8bec5cbd9bc41901
	.section	.bss,"aw",@nobits
	.globl	__hip_cuid_8bec5cbd9bc41901
__hip_cuid_8bec5cbd9bc41901:
	.byte	0                               ; 0x0
	.size	__hip_cuid_8bec5cbd9bc41901, 1

	.ident	"AMD clang version 19.0.0git (https://github.com/RadeonOpenCompute/llvm-project roc-6.4.0 25133 c7fe45cf4b819c5991fe208aaa96edf142730f1d)"
	.section	".note.GNU-stack","",@progbits
	.addrsig
	.addrsig_sym __hip_cuid_8bec5cbd9bc41901
	.amdgpu_metadata
---
amdhsa.kernels:
  - .args:
      - .actual_access:  read_only
        .address_space:  global
        .offset:         0
        .size:           8
        .value_kind:     global_buffer
      - .actual_access:  read_only
        .address_space:  global
        .offset:         8
        .size:           8
        .value_kind:     global_buffer
      - .actual_access:  read_only
        .address_space:  global
        .offset:         16
        .size:           8
        .value_kind:     global_buffer
      - .actual_access:  read_only
        .address_space:  global
        .offset:         24
        .size:           8
        .value_kind:     global_buffer
      - .actual_access:  read_only
        .address_space:  global
        .offset:         32
        .size:           8
        .value_kind:     global_buffer
      - .offset:         40
        .size:           8
        .value_kind:     by_value
      - .address_space:  global
        .offset:         48
        .size:           8
        .value_kind:     global_buffer
      - .address_space:  global
        .offset:         56
        .size:           8
        .value_kind:     global_buffer
      - .address_space:  global
        .offset:         64
        .size:           8
        .value_kind:     global_buffer
      - .address_space:  global
        .offset:         72
        .size:           8
        .value_kind:     global_buffer
      - .offset:         80
        .size:           4
        .value_kind:     by_value
      - .address_space:  global
        .offset:         88
        .size:           8
        .value_kind:     global_buffer
      - .address_space:  global
        .offset:         96
        .size:           8
        .value_kind:     global_buffer
    .group_segment_fixed_size: 6936
    .kernarg_segment_align: 8
    .kernarg_segment_size: 104
    .language:       OpenCL C
    .language_version:
      - 2
      - 0
    .max_flat_workgroup_size: 51
    .name:           bluestein_single_fwd_len867_dim1_sp_op_CI_CI
    .private_segment_fixed_size: 0
    .sgpr_count:     24
    .sgpr_spill_count: 0
    .symbol:         bluestein_single_fwd_len867_dim1_sp_op_CI_CI.kd
    .uniform_work_group_size: 1
    .uses_dynamic_stack: false
    .vgpr_count:     223
    .vgpr_spill_count: 0
    .wavefront_size: 64
amdhsa.target:   amdgcn-amd-amdhsa--gfx906
amdhsa.version:
  - 1
  - 2
...

	.end_amdgpu_metadata
